;; amdgpu-corpus repo=ROCm/hipCUB kind=compiled arch=gfx906 opt=O3
	.amdgcn_target "amdgcn-amd-amdhsa--gfx906"
	.amdhsa_code_object_version 6
	.section	.text._Z18warp_reduce_kernelIiLj15ELj100EENSt9enable_ifIXsr15benchmark_utilsE35device_test_enabled_for_warp_size_vIXT0_EEEvE4typeEPKT_PS3_,"axG",@progbits,_Z18warp_reduce_kernelIiLj15ELj100EENSt9enable_ifIXsr15benchmark_utilsE35device_test_enabled_for_warp_size_vIXT0_EEEvE4typeEPKT_PS3_,comdat
	.protected	_Z18warp_reduce_kernelIiLj15ELj100EENSt9enable_ifIXsr15benchmark_utilsE35device_test_enabled_for_warp_size_vIXT0_EEEvE4typeEPKT_PS3_ ; -- Begin function _Z18warp_reduce_kernelIiLj15ELj100EENSt9enable_ifIXsr15benchmark_utilsE35device_test_enabled_for_warp_size_vIXT0_EEEvE4typeEPKT_PS3_
	.globl	_Z18warp_reduce_kernelIiLj15ELj100EENSt9enable_ifIXsr15benchmark_utilsE35device_test_enabled_for_warp_size_vIXT0_EEEvE4typeEPKT_PS3_
	.p2align	8
	.type	_Z18warp_reduce_kernelIiLj15ELj100EENSt9enable_ifIXsr15benchmark_utilsE35device_test_enabled_for_warp_size_vIXT0_EEEvE4typeEPKT_PS3_,@function
_Z18warp_reduce_kernelIiLj15ELj100EENSt9enable_ifIXsr15benchmark_utilsE35device_test_enabled_for_warp_size_vIXT0_EEEvE4typeEPKT_PS3_: ; @_Z18warp_reduce_kernelIiLj15ELj100EENSt9enable_ifIXsr15benchmark_utilsE35device_test_enabled_for_warp_size_vIXT0_EEEvE4typeEPKT_PS3_
; %bb.0:
	s_load_dword s0, s[4:5], 0x1c
	s_load_dwordx4 s[8:11], s[4:5], 0x0
	v_mov_b32_e32 v1, 0
	s_waitcnt lgkmcnt(0)
	s_and_b32 s0, s0, 0xffff
	s_mul_i32 s6, s6, s0
	v_add_u32_e32 v0, s6, v0
	v_lshlrev_b64 v[0:1], 2, v[0:1]
	v_mov_b32_e32 v3, s9
	v_add_co_u32_e32 v2, vcc, s8, v0
	v_addc_co_u32_e32 v3, vcc, v3, v1, vcc
	global_load_dword v2, v[2:3], off
	v_mbcnt_lo_u32_b32 v3, -1, 0
	v_mbcnt_hi_u32_b32 v3, -1, v3
	s_mov_b32 s0, 0x11111112
	v_mul_hi_u32 v4, v3, s0
	s_movk_i32 s8, 0x64
	v_mul_u32_u24_e32 v4, 15, v4
	v_sub_u32_e32 v4, v3, v4
	v_lshlrev_b32_e32 v3, 2, v4
	v_cmp_gt_u32_e32 vcc, 7, v4
	v_cmp_gt_u32_e64 s[0:1], 4, v4
	v_cmp_gt_u32_e64 s[2:3], 2, v4
	v_cmp_eq_u32_e64 s[4:5], 0, v4
	s_branch .LBB0_2
.LBB0_1:                                ;   in Loop: Header=BB0_2 Depth=1
	s_or_b64 exec, exec, s[6:7]
	s_add_i32 s8, s8, -1
	s_cmp_eq_u32 s8, 0
	; wave barrier
	s_cbranch_scc1 .LBB0_18
.LBB0_2:                                ; =>This Inner Loop Header: Depth=1
	s_waitcnt vmcnt(0)
	ds_write_b32 v3, v2
	; wave barrier
	s_and_saveexec_b64 s[6:7], vcc
	s_cbranch_execz .LBB0_4
; %bb.3:                                ;   in Loop: Header=BB0_2 Depth=1
	ds_read2_b32 v[4:5], v3 offset1:8
	s_waitcnt lgkmcnt(0)
	v_add_u32_e32 v2, v5, v4
.LBB0_4:                                ;   in Loop: Header=BB0_2 Depth=1
	s_or_b64 exec, exec, s[6:7]
	; wave barrier
	s_and_saveexec_b64 s[6:7], vcc
; %bb.5:                                ;   in Loop: Header=BB0_2 Depth=1
	ds_write_b32 v3, v2
; %bb.6:                                ;   in Loop: Header=BB0_2 Depth=1
	s_or_b64 exec, exec, s[6:7]
	; wave barrier
	s_and_saveexec_b64 s[6:7], s[0:1]
	s_cbranch_execz .LBB0_8
; %bb.7:                                ;   in Loop: Header=BB0_2 Depth=1
	ds_read2_b32 v[4:5], v3 offset1:4
	s_waitcnt lgkmcnt(0)
	v_add_u32_e32 v2, v5, v4
.LBB0_8:                                ;   in Loop: Header=BB0_2 Depth=1
	s_or_b64 exec, exec, s[6:7]
	; wave barrier
	s_and_saveexec_b64 s[6:7], s[0:1]
; %bb.9:                                ;   in Loop: Header=BB0_2 Depth=1
	ds_write_b32 v3, v2
; %bb.10:                               ;   in Loop: Header=BB0_2 Depth=1
	s_or_b64 exec, exec, s[6:7]
	; wave barrier
	s_and_saveexec_b64 s[6:7], s[2:3]
	s_cbranch_execz .LBB0_12
; %bb.11:                               ;   in Loop: Header=BB0_2 Depth=1
	ds_read2_b32 v[4:5], v3 offset1:2
	s_waitcnt lgkmcnt(0)
	v_add_u32_e32 v2, v5, v4
.LBB0_12:                               ;   in Loop: Header=BB0_2 Depth=1
	s_or_b64 exec, exec, s[6:7]
	; wave barrier
	s_and_saveexec_b64 s[6:7], s[2:3]
; %bb.13:                               ;   in Loop: Header=BB0_2 Depth=1
	ds_write_b32 v3, v2
; %bb.14:                               ;   in Loop: Header=BB0_2 Depth=1
	s_or_b64 exec, exec, s[6:7]
	; wave barrier
	s_and_saveexec_b64 s[6:7], s[4:5]
	s_cbranch_execz .LBB0_16
; %bb.15:                               ;   in Loop: Header=BB0_2 Depth=1
	ds_read2_b32 v[4:5], v3 offset1:1
	s_waitcnt lgkmcnt(0)
	v_add_u32_e32 v2, v5, v4
.LBB0_16:                               ;   in Loop: Header=BB0_2 Depth=1
	s_or_b64 exec, exec, s[6:7]
	; wave barrier
	s_and_saveexec_b64 s[6:7], s[4:5]
	s_cbranch_execz .LBB0_1
; %bb.17:                               ;   in Loop: Header=BB0_2 Depth=1
	ds_write_b32 v3, v2
	s_branch .LBB0_1
.LBB0_18:
	v_mov_b32_e32 v3, s11
	v_add_co_u32_e32 v0, vcc, s10, v0
	v_addc_co_u32_e32 v1, vcc, v3, v1, vcc
	global_store_dword v[0:1], v2, off
	s_endpgm
	.section	.rodata,"a",@progbits
	.p2align	6, 0x0
	.amdhsa_kernel _Z18warp_reduce_kernelIiLj15ELj100EENSt9enable_ifIXsr15benchmark_utilsE35device_test_enabled_for_warp_size_vIXT0_EEEvE4typeEPKT_PS3_
		.amdhsa_group_segment_fixed_size 60
		.amdhsa_private_segment_fixed_size 0
		.amdhsa_kernarg_size 272
		.amdhsa_user_sgpr_count 6
		.amdhsa_user_sgpr_private_segment_buffer 1
		.amdhsa_user_sgpr_dispatch_ptr 0
		.amdhsa_user_sgpr_queue_ptr 0
		.amdhsa_user_sgpr_kernarg_segment_ptr 1
		.amdhsa_user_sgpr_dispatch_id 0
		.amdhsa_user_sgpr_flat_scratch_init 0
		.amdhsa_user_sgpr_private_segment_size 0
		.amdhsa_uses_dynamic_stack 0
		.amdhsa_system_sgpr_private_segment_wavefront_offset 0
		.amdhsa_system_sgpr_workgroup_id_x 1
		.amdhsa_system_sgpr_workgroup_id_y 0
		.amdhsa_system_sgpr_workgroup_id_z 0
		.amdhsa_system_sgpr_workgroup_info 0
		.amdhsa_system_vgpr_workitem_id 0
		.amdhsa_next_free_vgpr 6
		.amdhsa_next_free_sgpr 12
		.amdhsa_reserve_vcc 1
		.amdhsa_reserve_flat_scratch 0
		.amdhsa_float_round_mode_32 0
		.amdhsa_float_round_mode_16_64 0
		.amdhsa_float_denorm_mode_32 3
		.amdhsa_float_denorm_mode_16_64 3
		.amdhsa_dx10_clamp 1
		.amdhsa_ieee_mode 1
		.amdhsa_fp16_overflow 0
		.amdhsa_exception_fp_ieee_invalid_op 0
		.amdhsa_exception_fp_denorm_src 0
		.amdhsa_exception_fp_ieee_div_zero 0
		.amdhsa_exception_fp_ieee_overflow 0
		.amdhsa_exception_fp_ieee_underflow 0
		.amdhsa_exception_fp_ieee_inexact 0
		.amdhsa_exception_int_div_zero 0
	.end_amdhsa_kernel
	.section	.text._Z18warp_reduce_kernelIiLj15ELj100EENSt9enable_ifIXsr15benchmark_utilsE35device_test_enabled_for_warp_size_vIXT0_EEEvE4typeEPKT_PS3_,"axG",@progbits,_Z18warp_reduce_kernelIiLj15ELj100EENSt9enable_ifIXsr15benchmark_utilsE35device_test_enabled_for_warp_size_vIXT0_EEEvE4typeEPKT_PS3_,comdat
.Lfunc_end0:
	.size	_Z18warp_reduce_kernelIiLj15ELj100EENSt9enable_ifIXsr15benchmark_utilsE35device_test_enabled_for_warp_size_vIXT0_EEEvE4typeEPKT_PS3_, .Lfunc_end0-_Z18warp_reduce_kernelIiLj15ELj100EENSt9enable_ifIXsr15benchmark_utilsE35device_test_enabled_for_warp_size_vIXT0_EEEvE4typeEPKT_PS3_
                                        ; -- End function
	.set _Z18warp_reduce_kernelIiLj15ELj100EENSt9enable_ifIXsr15benchmark_utilsE35device_test_enabled_for_warp_size_vIXT0_EEEvE4typeEPKT_PS3_.num_vgpr, 6
	.set _Z18warp_reduce_kernelIiLj15ELj100EENSt9enable_ifIXsr15benchmark_utilsE35device_test_enabled_for_warp_size_vIXT0_EEEvE4typeEPKT_PS3_.num_agpr, 0
	.set _Z18warp_reduce_kernelIiLj15ELj100EENSt9enable_ifIXsr15benchmark_utilsE35device_test_enabled_for_warp_size_vIXT0_EEEvE4typeEPKT_PS3_.numbered_sgpr, 12
	.set _Z18warp_reduce_kernelIiLj15ELj100EENSt9enable_ifIXsr15benchmark_utilsE35device_test_enabled_for_warp_size_vIXT0_EEEvE4typeEPKT_PS3_.num_named_barrier, 0
	.set _Z18warp_reduce_kernelIiLj15ELj100EENSt9enable_ifIXsr15benchmark_utilsE35device_test_enabled_for_warp_size_vIXT0_EEEvE4typeEPKT_PS3_.private_seg_size, 0
	.set _Z18warp_reduce_kernelIiLj15ELj100EENSt9enable_ifIXsr15benchmark_utilsE35device_test_enabled_for_warp_size_vIXT0_EEEvE4typeEPKT_PS3_.uses_vcc, 1
	.set _Z18warp_reduce_kernelIiLj15ELj100EENSt9enable_ifIXsr15benchmark_utilsE35device_test_enabled_for_warp_size_vIXT0_EEEvE4typeEPKT_PS3_.uses_flat_scratch, 0
	.set _Z18warp_reduce_kernelIiLj15ELj100EENSt9enable_ifIXsr15benchmark_utilsE35device_test_enabled_for_warp_size_vIXT0_EEEvE4typeEPKT_PS3_.has_dyn_sized_stack, 0
	.set _Z18warp_reduce_kernelIiLj15ELj100EENSt9enable_ifIXsr15benchmark_utilsE35device_test_enabled_for_warp_size_vIXT0_EEEvE4typeEPKT_PS3_.has_recursion, 0
	.set _Z18warp_reduce_kernelIiLj15ELj100EENSt9enable_ifIXsr15benchmark_utilsE35device_test_enabled_for_warp_size_vIXT0_EEEvE4typeEPKT_PS3_.has_indirect_call, 0
	.section	.AMDGPU.csdata,"",@progbits
; Kernel info:
; codeLenInByte = 380
; TotalNumSgprs: 16
; NumVgprs: 6
; ScratchSize: 0
; MemoryBound: 0
; FloatMode: 240
; IeeeMode: 1
; LDSByteSize: 60 bytes/workgroup (compile time only)
; SGPRBlocks: 1
; VGPRBlocks: 1
; NumSGPRsForWavesPerEU: 16
; NumVGPRsForWavesPerEU: 6
; Occupancy: 10
; WaveLimiterHint : 0
; COMPUTE_PGM_RSRC2:SCRATCH_EN: 0
; COMPUTE_PGM_RSRC2:USER_SGPR: 6
; COMPUTE_PGM_RSRC2:TRAP_HANDLER: 0
; COMPUTE_PGM_RSRC2:TGID_X_EN: 1
; COMPUTE_PGM_RSRC2:TGID_Y_EN: 0
; COMPUTE_PGM_RSRC2:TGID_Z_EN: 0
; COMPUTE_PGM_RSRC2:TIDIG_COMP_CNT: 0
	.section	.text._Z18warp_reduce_kernelIiLj16ELj100EENSt9enable_ifIXsr15benchmark_utilsE35device_test_enabled_for_warp_size_vIXT0_EEEvE4typeEPKT_PS3_,"axG",@progbits,_Z18warp_reduce_kernelIiLj16ELj100EENSt9enable_ifIXsr15benchmark_utilsE35device_test_enabled_for_warp_size_vIXT0_EEEvE4typeEPKT_PS3_,comdat
	.protected	_Z18warp_reduce_kernelIiLj16ELj100EENSt9enable_ifIXsr15benchmark_utilsE35device_test_enabled_for_warp_size_vIXT0_EEEvE4typeEPKT_PS3_ ; -- Begin function _Z18warp_reduce_kernelIiLj16ELj100EENSt9enable_ifIXsr15benchmark_utilsE35device_test_enabled_for_warp_size_vIXT0_EEEvE4typeEPKT_PS3_
	.globl	_Z18warp_reduce_kernelIiLj16ELj100EENSt9enable_ifIXsr15benchmark_utilsE35device_test_enabled_for_warp_size_vIXT0_EEEvE4typeEPKT_PS3_
	.p2align	8
	.type	_Z18warp_reduce_kernelIiLj16ELj100EENSt9enable_ifIXsr15benchmark_utilsE35device_test_enabled_for_warp_size_vIXT0_EEEvE4typeEPKT_PS3_,@function
_Z18warp_reduce_kernelIiLj16ELj100EENSt9enable_ifIXsr15benchmark_utilsE35device_test_enabled_for_warp_size_vIXT0_EEEvE4typeEPKT_PS3_: ; @_Z18warp_reduce_kernelIiLj16ELj100EENSt9enable_ifIXsr15benchmark_utilsE35device_test_enabled_for_warp_size_vIXT0_EEEvE4typeEPKT_PS3_
; %bb.0:
	s_load_dword s7, s[4:5], 0x1c
	s_load_dwordx4 s[0:3], s[4:5], 0x0
	v_mov_b32_e32 v1, 0
	s_waitcnt lgkmcnt(0)
	s_and_b32 s4, s7, 0xffff
	s_mul_i32 s6, s6, s4
	v_add_u32_e32 v0, s6, v0
	v_lshlrev_b64 v[0:1], 2, v[0:1]
	v_mov_b32_e32 v3, s1
	v_add_co_u32_e32 v2, vcc, s0, v0
	v_addc_co_u32_e32 v3, vcc, v3, v1, vcc
	global_load_dword v2, v[2:3], off
	v_mbcnt_lo_u32_b32 v3, -1, 0
	v_mbcnt_hi_u32_b32 v6, -1, v3
	v_and_b32_e32 v5, 15, v6
	v_cmp_ne_u32_e32 vcc, 15, v5
	v_addc_co_u32_e32 v3, vcc, 0, v6, vcc
	v_cmp_gt_u32_e32 vcc, 14, v5
	v_cndmask_b32_e64 v4, 0, 2, vcc
	v_cmp_gt_u32_e32 vcc, 12, v5
	v_cndmask_b32_e64 v5, 0, 4, vcc
	v_lshlrev_b32_e32 v3, 2, v3
	v_add_lshl_u32 v4, v4, v6, 2
	v_add_lshl_u32 v5, v5, v6, 2
	v_lshl_or_b32 v6, v6, 2, 32
	s_movk_i32 s0, 0x64
.LBB1_1:                                ; =>This Inner Loop Header: Depth=1
	s_waitcnt vmcnt(0)
	ds_bpermute_b32 v7, v3, v2
	s_add_i32 s0, s0, -1
	s_cmp_eq_u32 s0, 0
	s_waitcnt lgkmcnt(0)
	v_add_u32_e32 v2, v7, v2
	ds_bpermute_b32 v7, v4, v2
	s_waitcnt lgkmcnt(0)
	v_add_u32_e32 v2, v7, v2
	ds_bpermute_b32 v7, v5, v2
	;; [unrolled: 3-line block ×3, first 2 shown]
	s_waitcnt lgkmcnt(0)
	v_add_u32_e32 v2, v7, v2
	s_cbranch_scc0 .LBB1_1
; %bb.2:
	v_mov_b32_e32 v3, s3
	v_add_co_u32_e32 v0, vcc, s2, v0
	v_addc_co_u32_e32 v1, vcc, v3, v1, vcc
	global_store_dword v[0:1], v2, off
	s_endpgm
	.section	.rodata,"a",@progbits
	.p2align	6, 0x0
	.amdhsa_kernel _Z18warp_reduce_kernelIiLj16ELj100EENSt9enable_ifIXsr15benchmark_utilsE35device_test_enabled_for_warp_size_vIXT0_EEEvE4typeEPKT_PS3_
		.amdhsa_group_segment_fixed_size 0
		.amdhsa_private_segment_fixed_size 0
		.amdhsa_kernarg_size 272
		.amdhsa_user_sgpr_count 6
		.amdhsa_user_sgpr_private_segment_buffer 1
		.amdhsa_user_sgpr_dispatch_ptr 0
		.amdhsa_user_sgpr_queue_ptr 0
		.amdhsa_user_sgpr_kernarg_segment_ptr 1
		.amdhsa_user_sgpr_dispatch_id 0
		.amdhsa_user_sgpr_flat_scratch_init 0
		.amdhsa_user_sgpr_private_segment_size 0
		.amdhsa_uses_dynamic_stack 0
		.amdhsa_system_sgpr_private_segment_wavefront_offset 0
		.amdhsa_system_sgpr_workgroup_id_x 1
		.amdhsa_system_sgpr_workgroup_id_y 0
		.amdhsa_system_sgpr_workgroup_id_z 0
		.amdhsa_system_sgpr_workgroup_info 0
		.amdhsa_system_vgpr_workitem_id 0
		.amdhsa_next_free_vgpr 8
		.amdhsa_next_free_sgpr 8
		.amdhsa_reserve_vcc 1
		.amdhsa_reserve_flat_scratch 0
		.amdhsa_float_round_mode_32 0
		.amdhsa_float_round_mode_16_64 0
		.amdhsa_float_denorm_mode_32 3
		.amdhsa_float_denorm_mode_16_64 3
		.amdhsa_dx10_clamp 1
		.amdhsa_ieee_mode 1
		.amdhsa_fp16_overflow 0
		.amdhsa_exception_fp_ieee_invalid_op 0
		.amdhsa_exception_fp_denorm_src 0
		.amdhsa_exception_fp_ieee_div_zero 0
		.amdhsa_exception_fp_ieee_overflow 0
		.amdhsa_exception_fp_ieee_underflow 0
		.amdhsa_exception_fp_ieee_inexact 0
		.amdhsa_exception_int_div_zero 0
	.end_amdhsa_kernel
	.section	.text._Z18warp_reduce_kernelIiLj16ELj100EENSt9enable_ifIXsr15benchmark_utilsE35device_test_enabled_for_warp_size_vIXT0_EEEvE4typeEPKT_PS3_,"axG",@progbits,_Z18warp_reduce_kernelIiLj16ELj100EENSt9enable_ifIXsr15benchmark_utilsE35device_test_enabled_for_warp_size_vIXT0_EEEvE4typeEPKT_PS3_,comdat
.Lfunc_end1:
	.size	_Z18warp_reduce_kernelIiLj16ELj100EENSt9enable_ifIXsr15benchmark_utilsE35device_test_enabled_for_warp_size_vIXT0_EEEvE4typeEPKT_PS3_, .Lfunc_end1-_Z18warp_reduce_kernelIiLj16ELj100EENSt9enable_ifIXsr15benchmark_utilsE35device_test_enabled_for_warp_size_vIXT0_EEEvE4typeEPKT_PS3_
                                        ; -- End function
	.set _Z18warp_reduce_kernelIiLj16ELj100EENSt9enable_ifIXsr15benchmark_utilsE35device_test_enabled_for_warp_size_vIXT0_EEEvE4typeEPKT_PS3_.num_vgpr, 8
	.set _Z18warp_reduce_kernelIiLj16ELj100EENSt9enable_ifIXsr15benchmark_utilsE35device_test_enabled_for_warp_size_vIXT0_EEEvE4typeEPKT_PS3_.num_agpr, 0
	.set _Z18warp_reduce_kernelIiLj16ELj100EENSt9enable_ifIXsr15benchmark_utilsE35device_test_enabled_for_warp_size_vIXT0_EEEvE4typeEPKT_PS3_.numbered_sgpr, 8
	.set _Z18warp_reduce_kernelIiLj16ELj100EENSt9enable_ifIXsr15benchmark_utilsE35device_test_enabled_for_warp_size_vIXT0_EEEvE4typeEPKT_PS3_.num_named_barrier, 0
	.set _Z18warp_reduce_kernelIiLj16ELj100EENSt9enable_ifIXsr15benchmark_utilsE35device_test_enabled_for_warp_size_vIXT0_EEEvE4typeEPKT_PS3_.private_seg_size, 0
	.set _Z18warp_reduce_kernelIiLj16ELj100EENSt9enable_ifIXsr15benchmark_utilsE35device_test_enabled_for_warp_size_vIXT0_EEEvE4typeEPKT_PS3_.uses_vcc, 1
	.set _Z18warp_reduce_kernelIiLj16ELj100EENSt9enable_ifIXsr15benchmark_utilsE35device_test_enabled_for_warp_size_vIXT0_EEEvE4typeEPKT_PS3_.uses_flat_scratch, 0
	.set _Z18warp_reduce_kernelIiLj16ELj100EENSt9enable_ifIXsr15benchmark_utilsE35device_test_enabled_for_warp_size_vIXT0_EEEvE4typeEPKT_PS3_.has_dyn_sized_stack, 0
	.set _Z18warp_reduce_kernelIiLj16ELj100EENSt9enable_ifIXsr15benchmark_utilsE35device_test_enabled_for_warp_size_vIXT0_EEEvE4typeEPKT_PS3_.has_recursion, 0
	.set _Z18warp_reduce_kernelIiLj16ELj100EENSt9enable_ifIXsr15benchmark_utilsE35device_test_enabled_for_warp_size_vIXT0_EEEvE4typeEPKT_PS3_.has_indirect_call, 0
	.section	.AMDGPU.csdata,"",@progbits
; Kernel info:
; codeLenInByte = 256
; TotalNumSgprs: 12
; NumVgprs: 8
; ScratchSize: 0
; MemoryBound: 0
; FloatMode: 240
; IeeeMode: 1
; LDSByteSize: 0 bytes/workgroup (compile time only)
; SGPRBlocks: 1
; VGPRBlocks: 1
; NumSGPRsForWavesPerEU: 12
; NumVGPRsForWavesPerEU: 8
; Occupancy: 10
; WaveLimiterHint : 0
; COMPUTE_PGM_RSRC2:SCRATCH_EN: 0
; COMPUTE_PGM_RSRC2:USER_SGPR: 6
; COMPUTE_PGM_RSRC2:TRAP_HANDLER: 0
; COMPUTE_PGM_RSRC2:TGID_X_EN: 1
; COMPUTE_PGM_RSRC2:TGID_Y_EN: 0
; COMPUTE_PGM_RSRC2:TGID_Z_EN: 0
; COMPUTE_PGM_RSRC2:TIDIG_COMP_CNT: 0
	.section	.text._Z18warp_reduce_kernelIiLj31ELj100EENSt9enable_ifIXsr15benchmark_utilsE35device_test_enabled_for_warp_size_vIXT0_EEEvE4typeEPKT_PS3_,"axG",@progbits,_Z18warp_reduce_kernelIiLj31ELj100EENSt9enable_ifIXsr15benchmark_utilsE35device_test_enabled_for_warp_size_vIXT0_EEEvE4typeEPKT_PS3_,comdat
	.protected	_Z18warp_reduce_kernelIiLj31ELj100EENSt9enable_ifIXsr15benchmark_utilsE35device_test_enabled_for_warp_size_vIXT0_EEEvE4typeEPKT_PS3_ ; -- Begin function _Z18warp_reduce_kernelIiLj31ELj100EENSt9enable_ifIXsr15benchmark_utilsE35device_test_enabled_for_warp_size_vIXT0_EEEvE4typeEPKT_PS3_
	.globl	_Z18warp_reduce_kernelIiLj31ELj100EENSt9enable_ifIXsr15benchmark_utilsE35device_test_enabled_for_warp_size_vIXT0_EEEvE4typeEPKT_PS3_
	.p2align	8
	.type	_Z18warp_reduce_kernelIiLj31ELj100EENSt9enable_ifIXsr15benchmark_utilsE35device_test_enabled_for_warp_size_vIXT0_EEEvE4typeEPKT_PS3_,@function
_Z18warp_reduce_kernelIiLj31ELj100EENSt9enable_ifIXsr15benchmark_utilsE35device_test_enabled_for_warp_size_vIXT0_EEEvE4typeEPKT_PS3_: ; @_Z18warp_reduce_kernelIiLj31ELj100EENSt9enable_ifIXsr15benchmark_utilsE35device_test_enabled_for_warp_size_vIXT0_EEEvE4typeEPKT_PS3_
; %bb.0:
	s_load_dword s0, s[4:5], 0x1c
	s_load_dwordx4 s[8:11], s[4:5], 0x0
	v_mov_b32_e32 v1, 0
	s_movk_i32 s12, 0x64
	s_waitcnt lgkmcnt(0)
	s_and_b32 s0, s0, 0xffff
	s_mul_i32 s6, s6, s0
	v_add_u32_e32 v0, s6, v0
	v_lshlrev_b64 v[0:1], 2, v[0:1]
	v_mov_b32_e32 v3, s9
	v_add_co_u32_e32 v2, vcc, s8, v0
	v_addc_co_u32_e32 v3, vcc, v3, v1, vcc
	global_load_dword v2, v[2:3], off
	v_mbcnt_lo_u32_b32 v3, -1, 0
	v_mbcnt_hi_u32_b32 v3, -1, v3
	s_mov_b32 s0, 0x8421085
	v_mul_hi_u32 v4, v3, s0
	v_mul_u32_u24_e32 v4, 31, v4
	v_sub_u32_e32 v4, v3, v4
	v_lshlrev_b32_e32 v3, 2, v4
	v_cmp_gt_u32_e32 vcc, 15, v4
	v_cmp_gt_u32_e64 s[0:1], 8, v4
	v_cmp_gt_u32_e64 s[2:3], 4, v4
	;; [unrolled: 1-line block ×3, first 2 shown]
	v_cmp_eq_u32_e64 s[6:7], 0, v4
	s_branch .LBB2_2
.LBB2_1:                                ;   in Loop: Header=BB2_2 Depth=1
	s_or_b64 exec, exec, s[8:9]
	s_add_i32 s12, s12, -1
	s_cmp_eq_u32 s12, 0
	; wave barrier
	s_cbranch_scc1 .LBB2_22
.LBB2_2:                                ; =>This Inner Loop Header: Depth=1
	s_waitcnt vmcnt(0)
	ds_write_b32 v3, v2
	; wave barrier
	s_and_saveexec_b64 s[8:9], vcc
	s_cbranch_execz .LBB2_4
; %bb.3:                                ;   in Loop: Header=BB2_2 Depth=1
	ds_read2_b32 v[4:5], v3 offset1:16
	s_waitcnt lgkmcnt(0)
	v_add_u32_e32 v2, v5, v4
.LBB2_4:                                ;   in Loop: Header=BB2_2 Depth=1
	s_or_b64 exec, exec, s[8:9]
	; wave barrier
	s_and_saveexec_b64 s[8:9], vcc
; %bb.5:                                ;   in Loop: Header=BB2_2 Depth=1
	ds_write_b32 v3, v2
; %bb.6:                                ;   in Loop: Header=BB2_2 Depth=1
	s_or_b64 exec, exec, s[8:9]
	; wave barrier
	s_and_saveexec_b64 s[8:9], s[0:1]
	s_cbranch_execz .LBB2_8
; %bb.7:                                ;   in Loop: Header=BB2_2 Depth=1
	ds_read2_b32 v[4:5], v3 offset1:8
	s_waitcnt lgkmcnt(0)
	v_add_u32_e32 v2, v5, v4
.LBB2_8:                                ;   in Loop: Header=BB2_2 Depth=1
	s_or_b64 exec, exec, s[8:9]
	; wave barrier
	s_and_saveexec_b64 s[8:9], s[0:1]
; %bb.9:                                ;   in Loop: Header=BB2_2 Depth=1
	ds_write_b32 v3, v2
; %bb.10:                               ;   in Loop: Header=BB2_2 Depth=1
	s_or_b64 exec, exec, s[8:9]
	; wave barrier
	s_and_saveexec_b64 s[8:9], s[2:3]
	s_cbranch_execz .LBB2_12
; %bb.11:                               ;   in Loop: Header=BB2_2 Depth=1
	ds_read2_b32 v[4:5], v3 offset1:4
	s_waitcnt lgkmcnt(0)
	v_add_u32_e32 v2, v5, v4
.LBB2_12:                               ;   in Loop: Header=BB2_2 Depth=1
	s_or_b64 exec, exec, s[8:9]
	; wave barrier
	s_and_saveexec_b64 s[8:9], s[2:3]
; %bb.13:                               ;   in Loop: Header=BB2_2 Depth=1
	ds_write_b32 v3, v2
; %bb.14:                               ;   in Loop: Header=BB2_2 Depth=1
	s_or_b64 exec, exec, s[8:9]
	; wave barrier
	s_and_saveexec_b64 s[8:9], s[4:5]
	s_cbranch_execz .LBB2_16
; %bb.15:                               ;   in Loop: Header=BB2_2 Depth=1
	ds_read2_b32 v[4:5], v3 offset1:2
	s_waitcnt lgkmcnt(0)
	v_add_u32_e32 v2, v5, v4
.LBB2_16:                               ;   in Loop: Header=BB2_2 Depth=1
	s_or_b64 exec, exec, s[8:9]
	; wave barrier
	s_and_saveexec_b64 s[8:9], s[4:5]
; %bb.17:                               ;   in Loop: Header=BB2_2 Depth=1
	ds_write_b32 v3, v2
; %bb.18:                               ;   in Loop: Header=BB2_2 Depth=1
	s_or_b64 exec, exec, s[8:9]
	; wave barrier
	s_and_saveexec_b64 s[8:9], s[6:7]
	s_cbranch_execz .LBB2_20
; %bb.19:                               ;   in Loop: Header=BB2_2 Depth=1
	ds_read2_b32 v[4:5], v3 offset1:1
	s_waitcnt lgkmcnt(0)
	v_add_u32_e32 v2, v5, v4
.LBB2_20:                               ;   in Loop: Header=BB2_2 Depth=1
	s_or_b64 exec, exec, s[8:9]
	; wave barrier
	s_and_saveexec_b64 s[8:9], s[6:7]
	s_cbranch_execz .LBB2_1
; %bb.21:                               ;   in Loop: Header=BB2_2 Depth=1
	ds_write_b32 v3, v2
	s_branch .LBB2_1
.LBB2_22:
	v_mov_b32_e32 v3, s11
	v_add_co_u32_e32 v0, vcc, s10, v0
	v_addc_co_u32_e32 v1, vcc, v3, v1, vcc
	global_store_dword v[0:1], v2, off
	s_endpgm
	.section	.rodata,"a",@progbits
	.p2align	6, 0x0
	.amdhsa_kernel _Z18warp_reduce_kernelIiLj31ELj100EENSt9enable_ifIXsr15benchmark_utilsE35device_test_enabled_for_warp_size_vIXT0_EEEvE4typeEPKT_PS3_
		.amdhsa_group_segment_fixed_size 124
		.amdhsa_private_segment_fixed_size 0
		.amdhsa_kernarg_size 272
		.amdhsa_user_sgpr_count 6
		.amdhsa_user_sgpr_private_segment_buffer 1
		.amdhsa_user_sgpr_dispatch_ptr 0
		.amdhsa_user_sgpr_queue_ptr 0
		.amdhsa_user_sgpr_kernarg_segment_ptr 1
		.amdhsa_user_sgpr_dispatch_id 0
		.amdhsa_user_sgpr_flat_scratch_init 0
		.amdhsa_user_sgpr_private_segment_size 0
		.amdhsa_uses_dynamic_stack 0
		.amdhsa_system_sgpr_private_segment_wavefront_offset 0
		.amdhsa_system_sgpr_workgroup_id_x 1
		.amdhsa_system_sgpr_workgroup_id_y 0
		.amdhsa_system_sgpr_workgroup_id_z 0
		.amdhsa_system_sgpr_workgroup_info 0
		.amdhsa_system_vgpr_workitem_id 0
		.amdhsa_next_free_vgpr 6
		.amdhsa_next_free_sgpr 13
		.amdhsa_reserve_vcc 1
		.amdhsa_reserve_flat_scratch 0
		.amdhsa_float_round_mode_32 0
		.amdhsa_float_round_mode_16_64 0
		.amdhsa_float_denorm_mode_32 3
		.amdhsa_float_denorm_mode_16_64 3
		.amdhsa_dx10_clamp 1
		.amdhsa_ieee_mode 1
		.amdhsa_fp16_overflow 0
		.amdhsa_exception_fp_ieee_invalid_op 0
		.amdhsa_exception_fp_denorm_src 0
		.amdhsa_exception_fp_ieee_div_zero 0
		.amdhsa_exception_fp_ieee_overflow 0
		.amdhsa_exception_fp_ieee_underflow 0
		.amdhsa_exception_fp_ieee_inexact 0
		.amdhsa_exception_int_div_zero 0
	.end_amdhsa_kernel
	.section	.text._Z18warp_reduce_kernelIiLj31ELj100EENSt9enable_ifIXsr15benchmark_utilsE35device_test_enabled_for_warp_size_vIXT0_EEEvE4typeEPKT_PS3_,"axG",@progbits,_Z18warp_reduce_kernelIiLj31ELj100EENSt9enable_ifIXsr15benchmark_utilsE35device_test_enabled_for_warp_size_vIXT0_EEEvE4typeEPKT_PS3_,comdat
.Lfunc_end2:
	.size	_Z18warp_reduce_kernelIiLj31ELj100EENSt9enable_ifIXsr15benchmark_utilsE35device_test_enabled_for_warp_size_vIXT0_EEEvE4typeEPKT_PS3_, .Lfunc_end2-_Z18warp_reduce_kernelIiLj31ELj100EENSt9enable_ifIXsr15benchmark_utilsE35device_test_enabled_for_warp_size_vIXT0_EEEvE4typeEPKT_PS3_
                                        ; -- End function
	.set _Z18warp_reduce_kernelIiLj31ELj100EENSt9enable_ifIXsr15benchmark_utilsE35device_test_enabled_for_warp_size_vIXT0_EEEvE4typeEPKT_PS3_.num_vgpr, 6
	.set _Z18warp_reduce_kernelIiLj31ELj100EENSt9enable_ifIXsr15benchmark_utilsE35device_test_enabled_for_warp_size_vIXT0_EEEvE4typeEPKT_PS3_.num_agpr, 0
	.set _Z18warp_reduce_kernelIiLj31ELj100EENSt9enable_ifIXsr15benchmark_utilsE35device_test_enabled_for_warp_size_vIXT0_EEEvE4typeEPKT_PS3_.numbered_sgpr, 13
	.set _Z18warp_reduce_kernelIiLj31ELj100EENSt9enable_ifIXsr15benchmark_utilsE35device_test_enabled_for_warp_size_vIXT0_EEEvE4typeEPKT_PS3_.num_named_barrier, 0
	.set _Z18warp_reduce_kernelIiLj31ELj100EENSt9enable_ifIXsr15benchmark_utilsE35device_test_enabled_for_warp_size_vIXT0_EEEvE4typeEPKT_PS3_.private_seg_size, 0
	.set _Z18warp_reduce_kernelIiLj31ELj100EENSt9enable_ifIXsr15benchmark_utilsE35device_test_enabled_for_warp_size_vIXT0_EEEvE4typeEPKT_PS3_.uses_vcc, 1
	.set _Z18warp_reduce_kernelIiLj31ELj100EENSt9enable_ifIXsr15benchmark_utilsE35device_test_enabled_for_warp_size_vIXT0_EEEvE4typeEPKT_PS3_.uses_flat_scratch, 0
	.set _Z18warp_reduce_kernelIiLj31ELj100EENSt9enable_ifIXsr15benchmark_utilsE35device_test_enabled_for_warp_size_vIXT0_EEEvE4typeEPKT_PS3_.has_dyn_sized_stack, 0
	.set _Z18warp_reduce_kernelIiLj31ELj100EENSt9enable_ifIXsr15benchmark_utilsE35device_test_enabled_for_warp_size_vIXT0_EEEvE4typeEPKT_PS3_.has_recursion, 0
	.set _Z18warp_reduce_kernelIiLj31ELj100EENSt9enable_ifIXsr15benchmark_utilsE35device_test_enabled_for_warp_size_vIXT0_EEEvE4typeEPKT_PS3_.has_indirect_call, 0
	.section	.AMDGPU.csdata,"",@progbits
; Kernel info:
; codeLenInByte = 432
; TotalNumSgprs: 17
; NumVgprs: 6
; ScratchSize: 0
; MemoryBound: 0
; FloatMode: 240
; IeeeMode: 1
; LDSByteSize: 124 bytes/workgroup (compile time only)
; SGPRBlocks: 2
; VGPRBlocks: 1
; NumSGPRsForWavesPerEU: 17
; NumVGPRsForWavesPerEU: 6
; Occupancy: 10
; WaveLimiterHint : 0
; COMPUTE_PGM_RSRC2:SCRATCH_EN: 0
; COMPUTE_PGM_RSRC2:USER_SGPR: 6
; COMPUTE_PGM_RSRC2:TRAP_HANDLER: 0
; COMPUTE_PGM_RSRC2:TGID_X_EN: 1
; COMPUTE_PGM_RSRC2:TGID_Y_EN: 0
; COMPUTE_PGM_RSRC2:TGID_Z_EN: 0
; COMPUTE_PGM_RSRC2:TIDIG_COMP_CNT: 0
	.section	.text._Z18warp_reduce_kernelIiLj32ELj100EENSt9enable_ifIXsr15benchmark_utilsE35device_test_enabled_for_warp_size_vIXT0_EEEvE4typeEPKT_PS3_,"axG",@progbits,_Z18warp_reduce_kernelIiLj32ELj100EENSt9enable_ifIXsr15benchmark_utilsE35device_test_enabled_for_warp_size_vIXT0_EEEvE4typeEPKT_PS3_,comdat
	.protected	_Z18warp_reduce_kernelIiLj32ELj100EENSt9enable_ifIXsr15benchmark_utilsE35device_test_enabled_for_warp_size_vIXT0_EEEvE4typeEPKT_PS3_ ; -- Begin function _Z18warp_reduce_kernelIiLj32ELj100EENSt9enable_ifIXsr15benchmark_utilsE35device_test_enabled_for_warp_size_vIXT0_EEEvE4typeEPKT_PS3_
	.globl	_Z18warp_reduce_kernelIiLj32ELj100EENSt9enable_ifIXsr15benchmark_utilsE35device_test_enabled_for_warp_size_vIXT0_EEEvE4typeEPKT_PS3_
	.p2align	8
	.type	_Z18warp_reduce_kernelIiLj32ELj100EENSt9enable_ifIXsr15benchmark_utilsE35device_test_enabled_for_warp_size_vIXT0_EEEvE4typeEPKT_PS3_,@function
_Z18warp_reduce_kernelIiLj32ELj100EENSt9enable_ifIXsr15benchmark_utilsE35device_test_enabled_for_warp_size_vIXT0_EEEvE4typeEPKT_PS3_: ; @_Z18warp_reduce_kernelIiLj32ELj100EENSt9enable_ifIXsr15benchmark_utilsE35device_test_enabled_for_warp_size_vIXT0_EEEvE4typeEPKT_PS3_
; %bb.0:
	s_load_dword s7, s[4:5], 0x1c
	s_load_dwordx4 s[0:3], s[4:5], 0x0
	v_mov_b32_e32 v1, 0
	s_waitcnt lgkmcnt(0)
	s_and_b32 s4, s7, 0xffff
	s_mul_i32 s6, s6, s4
	v_add_u32_e32 v0, s6, v0
	v_lshlrev_b64 v[0:1], 2, v[0:1]
	v_mov_b32_e32 v3, s1
	v_add_co_u32_e32 v2, vcc, s0, v0
	v_addc_co_u32_e32 v3, vcc, v3, v1, vcc
	global_load_dword v2, v[2:3], off
	v_mbcnt_lo_u32_b32 v3, -1, 0
	v_mbcnt_hi_u32_b32 v7, -1, v3
	v_and_b32_e32 v6, 31, v7
	v_cmp_ne_u32_e32 vcc, 31, v6
	v_addc_co_u32_e32 v3, vcc, 0, v7, vcc
	v_cmp_gt_u32_e32 vcc, 30, v6
	v_cndmask_b32_e64 v4, 0, 2, vcc
	v_cmp_gt_u32_e32 vcc, 28, v6
	v_cndmask_b32_e64 v5, 0, 4, vcc
	;; [unrolled: 2-line block ×3, first 2 shown]
	v_lshlrev_b32_e32 v3, 2, v3
	v_add_lshl_u32 v4, v4, v7, 2
	v_add_lshl_u32 v5, v5, v7, 2
	;; [unrolled: 1-line block ×3, first 2 shown]
	v_lshl_or_b32 v7, v7, 2, 64
	s_movk_i32 s0, 0x64
.LBB3_1:                                ; =>This Inner Loop Header: Depth=1
	s_waitcnt vmcnt(0)
	ds_bpermute_b32 v8, v3, v2
	s_add_i32 s0, s0, -1
	s_cmp_eq_u32 s0, 0
	s_waitcnt lgkmcnt(0)
	v_add_u32_e32 v2, v8, v2
	ds_bpermute_b32 v8, v4, v2
	s_waitcnt lgkmcnt(0)
	v_add_u32_e32 v2, v8, v2
	ds_bpermute_b32 v8, v5, v2
	;; [unrolled: 3-line block ×4, first 2 shown]
	s_waitcnt lgkmcnt(0)
	v_add_u32_e32 v2, v8, v2
	s_cbranch_scc0 .LBB3_1
; %bb.2:
	v_mov_b32_e32 v3, s3
	v_add_co_u32_e32 v0, vcc, s2, v0
	v_addc_co_u32_e32 v1, vcc, v3, v1, vcc
	global_store_dword v[0:1], v2, off
	s_endpgm
	.section	.rodata,"a",@progbits
	.p2align	6, 0x0
	.amdhsa_kernel _Z18warp_reduce_kernelIiLj32ELj100EENSt9enable_ifIXsr15benchmark_utilsE35device_test_enabled_for_warp_size_vIXT0_EEEvE4typeEPKT_PS3_
		.amdhsa_group_segment_fixed_size 0
		.amdhsa_private_segment_fixed_size 0
		.amdhsa_kernarg_size 272
		.amdhsa_user_sgpr_count 6
		.amdhsa_user_sgpr_private_segment_buffer 1
		.amdhsa_user_sgpr_dispatch_ptr 0
		.amdhsa_user_sgpr_queue_ptr 0
		.amdhsa_user_sgpr_kernarg_segment_ptr 1
		.amdhsa_user_sgpr_dispatch_id 0
		.amdhsa_user_sgpr_flat_scratch_init 0
		.amdhsa_user_sgpr_private_segment_size 0
		.amdhsa_uses_dynamic_stack 0
		.amdhsa_system_sgpr_private_segment_wavefront_offset 0
		.amdhsa_system_sgpr_workgroup_id_x 1
		.amdhsa_system_sgpr_workgroup_id_y 0
		.amdhsa_system_sgpr_workgroup_id_z 0
		.amdhsa_system_sgpr_workgroup_info 0
		.amdhsa_system_vgpr_workitem_id 0
		.amdhsa_next_free_vgpr 9
		.amdhsa_next_free_sgpr 8
		.amdhsa_reserve_vcc 1
		.amdhsa_reserve_flat_scratch 0
		.amdhsa_float_round_mode_32 0
		.amdhsa_float_round_mode_16_64 0
		.amdhsa_float_denorm_mode_32 3
		.amdhsa_float_denorm_mode_16_64 3
		.amdhsa_dx10_clamp 1
		.amdhsa_ieee_mode 1
		.amdhsa_fp16_overflow 0
		.amdhsa_exception_fp_ieee_invalid_op 0
		.amdhsa_exception_fp_denorm_src 0
		.amdhsa_exception_fp_ieee_div_zero 0
		.amdhsa_exception_fp_ieee_overflow 0
		.amdhsa_exception_fp_ieee_underflow 0
		.amdhsa_exception_fp_ieee_inexact 0
		.amdhsa_exception_int_div_zero 0
	.end_amdhsa_kernel
	.section	.text._Z18warp_reduce_kernelIiLj32ELj100EENSt9enable_ifIXsr15benchmark_utilsE35device_test_enabled_for_warp_size_vIXT0_EEEvE4typeEPKT_PS3_,"axG",@progbits,_Z18warp_reduce_kernelIiLj32ELj100EENSt9enable_ifIXsr15benchmark_utilsE35device_test_enabled_for_warp_size_vIXT0_EEEvE4typeEPKT_PS3_,comdat
.Lfunc_end3:
	.size	_Z18warp_reduce_kernelIiLj32ELj100EENSt9enable_ifIXsr15benchmark_utilsE35device_test_enabled_for_warp_size_vIXT0_EEEvE4typeEPKT_PS3_, .Lfunc_end3-_Z18warp_reduce_kernelIiLj32ELj100EENSt9enable_ifIXsr15benchmark_utilsE35device_test_enabled_for_warp_size_vIXT0_EEEvE4typeEPKT_PS3_
                                        ; -- End function
	.set _Z18warp_reduce_kernelIiLj32ELj100EENSt9enable_ifIXsr15benchmark_utilsE35device_test_enabled_for_warp_size_vIXT0_EEEvE4typeEPKT_PS3_.num_vgpr, 9
	.set _Z18warp_reduce_kernelIiLj32ELj100EENSt9enable_ifIXsr15benchmark_utilsE35device_test_enabled_for_warp_size_vIXT0_EEEvE4typeEPKT_PS3_.num_agpr, 0
	.set _Z18warp_reduce_kernelIiLj32ELj100EENSt9enable_ifIXsr15benchmark_utilsE35device_test_enabled_for_warp_size_vIXT0_EEEvE4typeEPKT_PS3_.numbered_sgpr, 8
	.set _Z18warp_reduce_kernelIiLj32ELj100EENSt9enable_ifIXsr15benchmark_utilsE35device_test_enabled_for_warp_size_vIXT0_EEEvE4typeEPKT_PS3_.num_named_barrier, 0
	.set _Z18warp_reduce_kernelIiLj32ELj100EENSt9enable_ifIXsr15benchmark_utilsE35device_test_enabled_for_warp_size_vIXT0_EEEvE4typeEPKT_PS3_.private_seg_size, 0
	.set _Z18warp_reduce_kernelIiLj32ELj100EENSt9enable_ifIXsr15benchmark_utilsE35device_test_enabled_for_warp_size_vIXT0_EEEvE4typeEPKT_PS3_.uses_vcc, 1
	.set _Z18warp_reduce_kernelIiLj32ELj100EENSt9enable_ifIXsr15benchmark_utilsE35device_test_enabled_for_warp_size_vIXT0_EEEvE4typeEPKT_PS3_.uses_flat_scratch, 0
	.set _Z18warp_reduce_kernelIiLj32ELj100EENSt9enable_ifIXsr15benchmark_utilsE35device_test_enabled_for_warp_size_vIXT0_EEEvE4typeEPKT_PS3_.has_dyn_sized_stack, 0
	.set _Z18warp_reduce_kernelIiLj32ELj100EENSt9enable_ifIXsr15benchmark_utilsE35device_test_enabled_for_warp_size_vIXT0_EEEvE4typeEPKT_PS3_.has_recursion, 0
	.set _Z18warp_reduce_kernelIiLj32ELj100EENSt9enable_ifIXsr15benchmark_utilsE35device_test_enabled_for_warp_size_vIXT0_EEEvE4typeEPKT_PS3_.has_indirect_call, 0
	.section	.AMDGPU.csdata,"",@progbits
; Kernel info:
; codeLenInByte = 292
; TotalNumSgprs: 12
; NumVgprs: 9
; ScratchSize: 0
; MemoryBound: 0
; FloatMode: 240
; IeeeMode: 1
; LDSByteSize: 0 bytes/workgroup (compile time only)
; SGPRBlocks: 1
; VGPRBlocks: 2
; NumSGPRsForWavesPerEU: 12
; NumVGPRsForWavesPerEU: 9
; Occupancy: 10
; WaveLimiterHint : 0
; COMPUTE_PGM_RSRC2:SCRATCH_EN: 0
; COMPUTE_PGM_RSRC2:USER_SGPR: 6
; COMPUTE_PGM_RSRC2:TRAP_HANDLER: 0
; COMPUTE_PGM_RSRC2:TGID_X_EN: 1
; COMPUTE_PGM_RSRC2:TGID_Y_EN: 0
; COMPUTE_PGM_RSRC2:TGID_Z_EN: 0
; COMPUTE_PGM_RSRC2:TIDIG_COMP_CNT: 0
	.section	.text._Z18warp_reduce_kernelIiLj37ELj100EENSt9enable_ifIXsr15benchmark_utilsE35device_test_enabled_for_warp_size_vIXT0_EEEvE4typeEPKT_PS3_,"axG",@progbits,_Z18warp_reduce_kernelIiLj37ELj100EENSt9enable_ifIXsr15benchmark_utilsE35device_test_enabled_for_warp_size_vIXT0_EEEvE4typeEPKT_PS3_,comdat
	.protected	_Z18warp_reduce_kernelIiLj37ELj100EENSt9enable_ifIXsr15benchmark_utilsE35device_test_enabled_for_warp_size_vIXT0_EEEvE4typeEPKT_PS3_ ; -- Begin function _Z18warp_reduce_kernelIiLj37ELj100EENSt9enable_ifIXsr15benchmark_utilsE35device_test_enabled_for_warp_size_vIXT0_EEEvE4typeEPKT_PS3_
	.globl	_Z18warp_reduce_kernelIiLj37ELj100EENSt9enable_ifIXsr15benchmark_utilsE35device_test_enabled_for_warp_size_vIXT0_EEEvE4typeEPKT_PS3_
	.p2align	8
	.type	_Z18warp_reduce_kernelIiLj37ELj100EENSt9enable_ifIXsr15benchmark_utilsE35device_test_enabled_for_warp_size_vIXT0_EEEvE4typeEPKT_PS3_,@function
_Z18warp_reduce_kernelIiLj37ELj100EENSt9enable_ifIXsr15benchmark_utilsE35device_test_enabled_for_warp_size_vIXT0_EEEvE4typeEPKT_PS3_: ; @_Z18warp_reduce_kernelIiLj37ELj100EENSt9enable_ifIXsr15benchmark_utilsE35device_test_enabled_for_warp_size_vIXT0_EEEvE4typeEPKT_PS3_
; %bb.0:
	s_load_dword s0, s[4:5], 0x1c
	s_load_dwordx4 s[8:11], s[4:5], 0x0
	v_mov_b32_e32 v1, 0
	s_movk_i32 s14, 0x64
	s_waitcnt lgkmcnt(0)
	s_and_b32 s0, s0, 0xffff
	s_mul_i32 s6, s6, s0
	v_add_u32_e32 v0, s6, v0
	v_lshlrev_b64 v[0:1], 2, v[0:1]
	v_mov_b32_e32 v3, s9
	v_add_co_u32_e32 v2, vcc, s8, v0
	v_addc_co_u32_e32 v3, vcc, v3, v1, vcc
	global_load_dword v2, v[2:3], off
	v_mbcnt_lo_u32_b32 v3, -1, 0
	v_mbcnt_hi_u32_b32 v3, -1, v3
	s_mov_b32 s0, 0x6eb3e46
	v_mul_hi_u32 v4, v3, s0
	v_mul_u32_u24_e32 v4, 37, v4
	v_sub_u32_e32 v4, v3, v4
	v_lshlrev_b32_e32 v3, 2, v4
	v_cmp_gt_u32_e32 vcc, 5, v4
	v_cmp_gt_u32_e64 s[0:1], 16, v4
	v_cmp_gt_u32_e64 s[2:3], 8, v4
	;; [unrolled: 1-line block ×4, first 2 shown]
	v_cmp_eq_u32_e64 s[8:9], 0, v4
	s_branch .LBB4_2
.LBB4_1:                                ;   in Loop: Header=BB4_2 Depth=1
	s_or_b64 exec, exec, s[12:13]
	s_add_i32 s14, s14, -1
	s_cmp_eq_u32 s14, 0
	; wave barrier
	s_cbranch_scc1 .LBB4_26
.LBB4_2:                                ; =>This Inner Loop Header: Depth=1
	s_waitcnt vmcnt(0)
	ds_write_b32 v3, v2
	; wave barrier
	s_and_saveexec_b64 s[12:13], vcc
	s_cbranch_execz .LBB4_4
; %bb.3:                                ;   in Loop: Header=BB4_2 Depth=1
	ds_read2_b32 v[4:5], v3 offset1:32
	s_waitcnt lgkmcnt(0)
	v_add_u32_e32 v2, v5, v4
.LBB4_4:                                ;   in Loop: Header=BB4_2 Depth=1
	s_or_b64 exec, exec, s[12:13]
	; wave barrier
	s_and_saveexec_b64 s[12:13], vcc
; %bb.5:                                ;   in Loop: Header=BB4_2 Depth=1
	ds_write_b32 v3, v2
; %bb.6:                                ;   in Loop: Header=BB4_2 Depth=1
	s_or_b64 exec, exec, s[12:13]
	; wave barrier
	s_and_saveexec_b64 s[12:13], s[0:1]
	s_cbranch_execz .LBB4_8
; %bb.7:                                ;   in Loop: Header=BB4_2 Depth=1
	ds_read2_b32 v[4:5], v3 offset1:16
	s_waitcnt lgkmcnt(0)
	v_add_u32_e32 v2, v5, v4
.LBB4_8:                                ;   in Loop: Header=BB4_2 Depth=1
	s_or_b64 exec, exec, s[12:13]
	; wave barrier
	s_and_saveexec_b64 s[12:13], s[0:1]
; %bb.9:                                ;   in Loop: Header=BB4_2 Depth=1
	ds_write_b32 v3, v2
; %bb.10:                               ;   in Loop: Header=BB4_2 Depth=1
	s_or_b64 exec, exec, s[12:13]
	; wave barrier
	s_and_saveexec_b64 s[12:13], s[2:3]
	s_cbranch_execz .LBB4_12
; %bb.11:                               ;   in Loop: Header=BB4_2 Depth=1
	ds_read2_b32 v[4:5], v3 offset1:8
	s_waitcnt lgkmcnt(0)
	v_add_u32_e32 v2, v5, v4
.LBB4_12:                               ;   in Loop: Header=BB4_2 Depth=1
	s_or_b64 exec, exec, s[12:13]
	; wave barrier
	s_and_saveexec_b64 s[12:13], s[2:3]
; %bb.13:                               ;   in Loop: Header=BB4_2 Depth=1
	ds_write_b32 v3, v2
; %bb.14:                               ;   in Loop: Header=BB4_2 Depth=1
	s_or_b64 exec, exec, s[12:13]
	; wave barrier
	s_and_saveexec_b64 s[12:13], s[4:5]
	s_cbranch_execz .LBB4_16
; %bb.15:                               ;   in Loop: Header=BB4_2 Depth=1
	ds_read2_b32 v[4:5], v3 offset1:4
	s_waitcnt lgkmcnt(0)
	v_add_u32_e32 v2, v5, v4
.LBB4_16:                               ;   in Loop: Header=BB4_2 Depth=1
	s_or_b64 exec, exec, s[12:13]
	; wave barrier
	s_and_saveexec_b64 s[12:13], s[4:5]
; %bb.17:                               ;   in Loop: Header=BB4_2 Depth=1
	;; [unrolled: 15-line block ×3, first 2 shown]
	ds_write_b32 v3, v2
; %bb.22:                               ;   in Loop: Header=BB4_2 Depth=1
	s_or_b64 exec, exec, s[12:13]
	; wave barrier
	s_and_saveexec_b64 s[12:13], s[8:9]
	s_cbranch_execz .LBB4_24
; %bb.23:                               ;   in Loop: Header=BB4_2 Depth=1
	ds_read2_b32 v[4:5], v3 offset1:1
	s_waitcnt lgkmcnt(0)
	v_add_u32_e32 v2, v5, v4
.LBB4_24:                               ;   in Loop: Header=BB4_2 Depth=1
	s_or_b64 exec, exec, s[12:13]
	; wave barrier
	s_and_saveexec_b64 s[12:13], s[8:9]
	s_cbranch_execz .LBB4_1
; %bb.25:                               ;   in Loop: Header=BB4_2 Depth=1
	ds_write_b32 v3, v2
	s_branch .LBB4_1
.LBB4_26:
	v_mov_b32_e32 v3, s11
	v_add_co_u32_e32 v0, vcc, s10, v0
	v_addc_co_u32_e32 v1, vcc, v3, v1, vcc
	global_store_dword v[0:1], v2, off
	s_endpgm
	.section	.rodata,"a",@progbits
	.p2align	6, 0x0
	.amdhsa_kernel _Z18warp_reduce_kernelIiLj37ELj100EENSt9enable_ifIXsr15benchmark_utilsE35device_test_enabled_for_warp_size_vIXT0_EEEvE4typeEPKT_PS3_
		.amdhsa_group_segment_fixed_size 148
		.amdhsa_private_segment_fixed_size 0
		.amdhsa_kernarg_size 272
		.amdhsa_user_sgpr_count 6
		.amdhsa_user_sgpr_private_segment_buffer 1
		.amdhsa_user_sgpr_dispatch_ptr 0
		.amdhsa_user_sgpr_queue_ptr 0
		.amdhsa_user_sgpr_kernarg_segment_ptr 1
		.amdhsa_user_sgpr_dispatch_id 0
		.amdhsa_user_sgpr_flat_scratch_init 0
		.amdhsa_user_sgpr_private_segment_size 0
		.amdhsa_uses_dynamic_stack 0
		.amdhsa_system_sgpr_private_segment_wavefront_offset 0
		.amdhsa_system_sgpr_workgroup_id_x 1
		.amdhsa_system_sgpr_workgroup_id_y 0
		.amdhsa_system_sgpr_workgroup_id_z 0
		.amdhsa_system_sgpr_workgroup_info 0
		.amdhsa_system_vgpr_workitem_id 0
		.amdhsa_next_free_vgpr 6
		.amdhsa_next_free_sgpr 15
		.amdhsa_reserve_vcc 1
		.amdhsa_reserve_flat_scratch 0
		.amdhsa_float_round_mode_32 0
		.amdhsa_float_round_mode_16_64 0
		.amdhsa_float_denorm_mode_32 3
		.amdhsa_float_denorm_mode_16_64 3
		.amdhsa_dx10_clamp 1
		.amdhsa_ieee_mode 1
		.amdhsa_fp16_overflow 0
		.amdhsa_exception_fp_ieee_invalid_op 0
		.amdhsa_exception_fp_denorm_src 0
		.amdhsa_exception_fp_ieee_div_zero 0
		.amdhsa_exception_fp_ieee_overflow 0
		.amdhsa_exception_fp_ieee_underflow 0
		.amdhsa_exception_fp_ieee_inexact 0
		.amdhsa_exception_int_div_zero 0
	.end_amdhsa_kernel
	.section	.text._Z18warp_reduce_kernelIiLj37ELj100EENSt9enable_ifIXsr15benchmark_utilsE35device_test_enabled_for_warp_size_vIXT0_EEEvE4typeEPKT_PS3_,"axG",@progbits,_Z18warp_reduce_kernelIiLj37ELj100EENSt9enable_ifIXsr15benchmark_utilsE35device_test_enabled_for_warp_size_vIXT0_EEEvE4typeEPKT_PS3_,comdat
.Lfunc_end4:
	.size	_Z18warp_reduce_kernelIiLj37ELj100EENSt9enable_ifIXsr15benchmark_utilsE35device_test_enabled_for_warp_size_vIXT0_EEEvE4typeEPKT_PS3_, .Lfunc_end4-_Z18warp_reduce_kernelIiLj37ELj100EENSt9enable_ifIXsr15benchmark_utilsE35device_test_enabled_for_warp_size_vIXT0_EEEvE4typeEPKT_PS3_
                                        ; -- End function
	.set _Z18warp_reduce_kernelIiLj37ELj100EENSt9enable_ifIXsr15benchmark_utilsE35device_test_enabled_for_warp_size_vIXT0_EEEvE4typeEPKT_PS3_.num_vgpr, 6
	.set _Z18warp_reduce_kernelIiLj37ELj100EENSt9enable_ifIXsr15benchmark_utilsE35device_test_enabled_for_warp_size_vIXT0_EEEvE4typeEPKT_PS3_.num_agpr, 0
	.set _Z18warp_reduce_kernelIiLj37ELj100EENSt9enable_ifIXsr15benchmark_utilsE35device_test_enabled_for_warp_size_vIXT0_EEEvE4typeEPKT_PS3_.numbered_sgpr, 15
	.set _Z18warp_reduce_kernelIiLj37ELj100EENSt9enable_ifIXsr15benchmark_utilsE35device_test_enabled_for_warp_size_vIXT0_EEEvE4typeEPKT_PS3_.num_named_barrier, 0
	.set _Z18warp_reduce_kernelIiLj37ELj100EENSt9enable_ifIXsr15benchmark_utilsE35device_test_enabled_for_warp_size_vIXT0_EEEvE4typeEPKT_PS3_.private_seg_size, 0
	.set _Z18warp_reduce_kernelIiLj37ELj100EENSt9enable_ifIXsr15benchmark_utilsE35device_test_enabled_for_warp_size_vIXT0_EEEvE4typeEPKT_PS3_.uses_vcc, 1
	.set _Z18warp_reduce_kernelIiLj37ELj100EENSt9enable_ifIXsr15benchmark_utilsE35device_test_enabled_for_warp_size_vIXT0_EEEvE4typeEPKT_PS3_.uses_flat_scratch, 0
	.set _Z18warp_reduce_kernelIiLj37ELj100EENSt9enable_ifIXsr15benchmark_utilsE35device_test_enabled_for_warp_size_vIXT0_EEEvE4typeEPKT_PS3_.has_dyn_sized_stack, 0
	.set _Z18warp_reduce_kernelIiLj37ELj100EENSt9enable_ifIXsr15benchmark_utilsE35device_test_enabled_for_warp_size_vIXT0_EEEvE4typeEPKT_PS3_.has_recursion, 0
	.set _Z18warp_reduce_kernelIiLj37ELj100EENSt9enable_ifIXsr15benchmark_utilsE35device_test_enabled_for_warp_size_vIXT0_EEEvE4typeEPKT_PS3_.has_indirect_call, 0
	.section	.AMDGPU.csdata,"",@progbits
; Kernel info:
; codeLenInByte = 484
; TotalNumSgprs: 19
; NumVgprs: 6
; ScratchSize: 0
; MemoryBound: 0
; FloatMode: 240
; IeeeMode: 1
; LDSByteSize: 148 bytes/workgroup (compile time only)
; SGPRBlocks: 2
; VGPRBlocks: 1
; NumSGPRsForWavesPerEU: 19
; NumVGPRsForWavesPerEU: 6
; Occupancy: 10
; WaveLimiterHint : 0
; COMPUTE_PGM_RSRC2:SCRATCH_EN: 0
; COMPUTE_PGM_RSRC2:USER_SGPR: 6
; COMPUTE_PGM_RSRC2:TRAP_HANDLER: 0
; COMPUTE_PGM_RSRC2:TGID_X_EN: 1
; COMPUTE_PGM_RSRC2:TGID_Y_EN: 0
; COMPUTE_PGM_RSRC2:TGID_Z_EN: 0
; COMPUTE_PGM_RSRC2:TIDIG_COMP_CNT: 0
	.section	.text._Z18warp_reduce_kernelIiLj61ELj100EENSt9enable_ifIXsr15benchmark_utilsE35device_test_enabled_for_warp_size_vIXT0_EEEvE4typeEPKT_PS3_,"axG",@progbits,_Z18warp_reduce_kernelIiLj61ELj100EENSt9enable_ifIXsr15benchmark_utilsE35device_test_enabled_for_warp_size_vIXT0_EEEvE4typeEPKT_PS3_,comdat
	.protected	_Z18warp_reduce_kernelIiLj61ELj100EENSt9enable_ifIXsr15benchmark_utilsE35device_test_enabled_for_warp_size_vIXT0_EEEvE4typeEPKT_PS3_ ; -- Begin function _Z18warp_reduce_kernelIiLj61ELj100EENSt9enable_ifIXsr15benchmark_utilsE35device_test_enabled_for_warp_size_vIXT0_EEEvE4typeEPKT_PS3_
	.globl	_Z18warp_reduce_kernelIiLj61ELj100EENSt9enable_ifIXsr15benchmark_utilsE35device_test_enabled_for_warp_size_vIXT0_EEEvE4typeEPKT_PS3_
	.p2align	8
	.type	_Z18warp_reduce_kernelIiLj61ELj100EENSt9enable_ifIXsr15benchmark_utilsE35device_test_enabled_for_warp_size_vIXT0_EEEvE4typeEPKT_PS3_,@function
_Z18warp_reduce_kernelIiLj61ELj100EENSt9enable_ifIXsr15benchmark_utilsE35device_test_enabled_for_warp_size_vIXT0_EEEvE4typeEPKT_PS3_: ; @_Z18warp_reduce_kernelIiLj61ELj100EENSt9enable_ifIXsr15benchmark_utilsE35device_test_enabled_for_warp_size_vIXT0_EEEvE4typeEPKT_PS3_
; %bb.0:
	s_load_dword s0, s[4:5], 0x1c
	s_load_dwordx4 s[8:11], s[4:5], 0x0
	v_mov_b32_e32 v1, 0
	s_movk_i32 s14, 0x64
	s_waitcnt lgkmcnt(0)
	s_and_b32 s0, s0, 0xffff
	s_mul_i32 s6, s6, s0
	v_add_u32_e32 v0, s6, v0
	v_lshlrev_b64 v[0:1], 2, v[0:1]
	v_mov_b32_e32 v3, s9
	v_add_co_u32_e32 v2, vcc, s8, v0
	v_addc_co_u32_e32 v3, vcc, v3, v1, vcc
	global_load_dword v2, v[2:3], off
	v_mbcnt_lo_u32_b32 v3, -1, 0
	v_mbcnt_hi_u32_b32 v3, -1, v3
	s_mov_b32 s0, 0x4325c54
	v_mul_hi_u32 v4, v3, s0
	v_mul_u32_u24_e32 v4, 61, v4
	v_sub_u32_e32 v4, v3, v4
	v_lshlrev_b32_e32 v3, 2, v4
	v_cmp_gt_u32_e32 vcc, 29, v4
	v_cmp_gt_u32_e64 s[0:1], 16, v4
	v_cmp_gt_u32_e64 s[2:3], 8, v4
	;; [unrolled: 1-line block ×4, first 2 shown]
	v_cmp_eq_u32_e64 s[8:9], 0, v4
	s_branch .LBB5_2
.LBB5_1:                                ;   in Loop: Header=BB5_2 Depth=1
	s_or_b64 exec, exec, s[12:13]
	s_add_i32 s14, s14, -1
	s_cmp_eq_u32 s14, 0
	; wave barrier
	s_cbranch_scc1 .LBB5_26
.LBB5_2:                                ; =>This Inner Loop Header: Depth=1
	s_waitcnt vmcnt(0)
	ds_write_b32 v3, v2
	; wave barrier
	s_and_saveexec_b64 s[12:13], vcc
	s_cbranch_execz .LBB5_4
; %bb.3:                                ;   in Loop: Header=BB5_2 Depth=1
	ds_read2_b32 v[4:5], v3 offset1:32
	s_waitcnt lgkmcnt(0)
	v_add_u32_e32 v2, v5, v4
.LBB5_4:                                ;   in Loop: Header=BB5_2 Depth=1
	s_or_b64 exec, exec, s[12:13]
	; wave barrier
	s_and_saveexec_b64 s[12:13], vcc
; %bb.5:                                ;   in Loop: Header=BB5_2 Depth=1
	ds_write_b32 v3, v2
; %bb.6:                                ;   in Loop: Header=BB5_2 Depth=1
	s_or_b64 exec, exec, s[12:13]
	; wave barrier
	s_and_saveexec_b64 s[12:13], s[0:1]
	s_cbranch_execz .LBB5_8
; %bb.7:                                ;   in Loop: Header=BB5_2 Depth=1
	ds_read2_b32 v[4:5], v3 offset1:16
	s_waitcnt lgkmcnt(0)
	v_add_u32_e32 v2, v5, v4
.LBB5_8:                                ;   in Loop: Header=BB5_2 Depth=1
	s_or_b64 exec, exec, s[12:13]
	; wave barrier
	s_and_saveexec_b64 s[12:13], s[0:1]
; %bb.9:                                ;   in Loop: Header=BB5_2 Depth=1
	ds_write_b32 v3, v2
; %bb.10:                               ;   in Loop: Header=BB5_2 Depth=1
	s_or_b64 exec, exec, s[12:13]
	; wave barrier
	s_and_saveexec_b64 s[12:13], s[2:3]
	s_cbranch_execz .LBB5_12
; %bb.11:                               ;   in Loop: Header=BB5_2 Depth=1
	ds_read2_b32 v[4:5], v3 offset1:8
	s_waitcnt lgkmcnt(0)
	v_add_u32_e32 v2, v5, v4
.LBB5_12:                               ;   in Loop: Header=BB5_2 Depth=1
	s_or_b64 exec, exec, s[12:13]
	; wave barrier
	s_and_saveexec_b64 s[12:13], s[2:3]
; %bb.13:                               ;   in Loop: Header=BB5_2 Depth=1
	ds_write_b32 v3, v2
; %bb.14:                               ;   in Loop: Header=BB5_2 Depth=1
	s_or_b64 exec, exec, s[12:13]
	; wave barrier
	s_and_saveexec_b64 s[12:13], s[4:5]
	s_cbranch_execz .LBB5_16
; %bb.15:                               ;   in Loop: Header=BB5_2 Depth=1
	ds_read2_b32 v[4:5], v3 offset1:4
	s_waitcnt lgkmcnt(0)
	v_add_u32_e32 v2, v5, v4
.LBB5_16:                               ;   in Loop: Header=BB5_2 Depth=1
	s_or_b64 exec, exec, s[12:13]
	; wave barrier
	s_and_saveexec_b64 s[12:13], s[4:5]
; %bb.17:                               ;   in Loop: Header=BB5_2 Depth=1
	;; [unrolled: 15-line block ×3, first 2 shown]
	ds_write_b32 v3, v2
; %bb.22:                               ;   in Loop: Header=BB5_2 Depth=1
	s_or_b64 exec, exec, s[12:13]
	; wave barrier
	s_and_saveexec_b64 s[12:13], s[8:9]
	s_cbranch_execz .LBB5_24
; %bb.23:                               ;   in Loop: Header=BB5_2 Depth=1
	ds_read2_b32 v[4:5], v3 offset1:1
	s_waitcnt lgkmcnt(0)
	v_add_u32_e32 v2, v5, v4
.LBB5_24:                               ;   in Loop: Header=BB5_2 Depth=1
	s_or_b64 exec, exec, s[12:13]
	; wave barrier
	s_and_saveexec_b64 s[12:13], s[8:9]
	s_cbranch_execz .LBB5_1
; %bb.25:                               ;   in Loop: Header=BB5_2 Depth=1
	ds_write_b32 v3, v2
	s_branch .LBB5_1
.LBB5_26:
	v_mov_b32_e32 v3, s11
	v_add_co_u32_e32 v0, vcc, s10, v0
	v_addc_co_u32_e32 v1, vcc, v3, v1, vcc
	global_store_dword v[0:1], v2, off
	s_endpgm
	.section	.rodata,"a",@progbits
	.p2align	6, 0x0
	.amdhsa_kernel _Z18warp_reduce_kernelIiLj61ELj100EENSt9enable_ifIXsr15benchmark_utilsE35device_test_enabled_for_warp_size_vIXT0_EEEvE4typeEPKT_PS3_
		.amdhsa_group_segment_fixed_size 244
		.amdhsa_private_segment_fixed_size 0
		.amdhsa_kernarg_size 272
		.amdhsa_user_sgpr_count 6
		.amdhsa_user_sgpr_private_segment_buffer 1
		.amdhsa_user_sgpr_dispatch_ptr 0
		.amdhsa_user_sgpr_queue_ptr 0
		.amdhsa_user_sgpr_kernarg_segment_ptr 1
		.amdhsa_user_sgpr_dispatch_id 0
		.amdhsa_user_sgpr_flat_scratch_init 0
		.amdhsa_user_sgpr_private_segment_size 0
		.amdhsa_uses_dynamic_stack 0
		.amdhsa_system_sgpr_private_segment_wavefront_offset 0
		.amdhsa_system_sgpr_workgroup_id_x 1
		.amdhsa_system_sgpr_workgroup_id_y 0
		.amdhsa_system_sgpr_workgroup_id_z 0
		.amdhsa_system_sgpr_workgroup_info 0
		.amdhsa_system_vgpr_workitem_id 0
		.amdhsa_next_free_vgpr 6
		.amdhsa_next_free_sgpr 15
		.amdhsa_reserve_vcc 1
		.amdhsa_reserve_flat_scratch 0
		.amdhsa_float_round_mode_32 0
		.amdhsa_float_round_mode_16_64 0
		.amdhsa_float_denorm_mode_32 3
		.amdhsa_float_denorm_mode_16_64 3
		.amdhsa_dx10_clamp 1
		.amdhsa_ieee_mode 1
		.amdhsa_fp16_overflow 0
		.amdhsa_exception_fp_ieee_invalid_op 0
		.amdhsa_exception_fp_denorm_src 0
		.amdhsa_exception_fp_ieee_div_zero 0
		.amdhsa_exception_fp_ieee_overflow 0
		.amdhsa_exception_fp_ieee_underflow 0
		.amdhsa_exception_fp_ieee_inexact 0
		.amdhsa_exception_int_div_zero 0
	.end_amdhsa_kernel
	.section	.text._Z18warp_reduce_kernelIiLj61ELj100EENSt9enable_ifIXsr15benchmark_utilsE35device_test_enabled_for_warp_size_vIXT0_EEEvE4typeEPKT_PS3_,"axG",@progbits,_Z18warp_reduce_kernelIiLj61ELj100EENSt9enable_ifIXsr15benchmark_utilsE35device_test_enabled_for_warp_size_vIXT0_EEEvE4typeEPKT_PS3_,comdat
.Lfunc_end5:
	.size	_Z18warp_reduce_kernelIiLj61ELj100EENSt9enable_ifIXsr15benchmark_utilsE35device_test_enabled_for_warp_size_vIXT0_EEEvE4typeEPKT_PS3_, .Lfunc_end5-_Z18warp_reduce_kernelIiLj61ELj100EENSt9enable_ifIXsr15benchmark_utilsE35device_test_enabled_for_warp_size_vIXT0_EEEvE4typeEPKT_PS3_
                                        ; -- End function
	.set _Z18warp_reduce_kernelIiLj61ELj100EENSt9enable_ifIXsr15benchmark_utilsE35device_test_enabled_for_warp_size_vIXT0_EEEvE4typeEPKT_PS3_.num_vgpr, 6
	.set _Z18warp_reduce_kernelIiLj61ELj100EENSt9enable_ifIXsr15benchmark_utilsE35device_test_enabled_for_warp_size_vIXT0_EEEvE4typeEPKT_PS3_.num_agpr, 0
	.set _Z18warp_reduce_kernelIiLj61ELj100EENSt9enable_ifIXsr15benchmark_utilsE35device_test_enabled_for_warp_size_vIXT0_EEEvE4typeEPKT_PS3_.numbered_sgpr, 15
	.set _Z18warp_reduce_kernelIiLj61ELj100EENSt9enable_ifIXsr15benchmark_utilsE35device_test_enabled_for_warp_size_vIXT0_EEEvE4typeEPKT_PS3_.num_named_barrier, 0
	.set _Z18warp_reduce_kernelIiLj61ELj100EENSt9enable_ifIXsr15benchmark_utilsE35device_test_enabled_for_warp_size_vIXT0_EEEvE4typeEPKT_PS3_.private_seg_size, 0
	.set _Z18warp_reduce_kernelIiLj61ELj100EENSt9enable_ifIXsr15benchmark_utilsE35device_test_enabled_for_warp_size_vIXT0_EEEvE4typeEPKT_PS3_.uses_vcc, 1
	.set _Z18warp_reduce_kernelIiLj61ELj100EENSt9enable_ifIXsr15benchmark_utilsE35device_test_enabled_for_warp_size_vIXT0_EEEvE4typeEPKT_PS3_.uses_flat_scratch, 0
	.set _Z18warp_reduce_kernelIiLj61ELj100EENSt9enable_ifIXsr15benchmark_utilsE35device_test_enabled_for_warp_size_vIXT0_EEEvE4typeEPKT_PS3_.has_dyn_sized_stack, 0
	.set _Z18warp_reduce_kernelIiLj61ELj100EENSt9enable_ifIXsr15benchmark_utilsE35device_test_enabled_for_warp_size_vIXT0_EEEvE4typeEPKT_PS3_.has_recursion, 0
	.set _Z18warp_reduce_kernelIiLj61ELj100EENSt9enable_ifIXsr15benchmark_utilsE35device_test_enabled_for_warp_size_vIXT0_EEEvE4typeEPKT_PS3_.has_indirect_call, 0
	.section	.AMDGPU.csdata,"",@progbits
; Kernel info:
; codeLenInByte = 484
; TotalNumSgprs: 19
; NumVgprs: 6
; ScratchSize: 0
; MemoryBound: 0
; FloatMode: 240
; IeeeMode: 1
; LDSByteSize: 244 bytes/workgroup (compile time only)
; SGPRBlocks: 2
; VGPRBlocks: 1
; NumSGPRsForWavesPerEU: 19
; NumVGPRsForWavesPerEU: 6
; Occupancy: 10
; WaveLimiterHint : 0
; COMPUTE_PGM_RSRC2:SCRATCH_EN: 0
; COMPUTE_PGM_RSRC2:USER_SGPR: 6
; COMPUTE_PGM_RSRC2:TRAP_HANDLER: 0
; COMPUTE_PGM_RSRC2:TGID_X_EN: 1
; COMPUTE_PGM_RSRC2:TGID_Y_EN: 0
; COMPUTE_PGM_RSRC2:TGID_Z_EN: 0
; COMPUTE_PGM_RSRC2:TIDIG_COMP_CNT: 0
	.section	.text._Z18warp_reduce_kernelIiLj64ELj100EENSt9enable_ifIXsr15benchmark_utilsE35device_test_enabled_for_warp_size_vIXT0_EEEvE4typeEPKT_PS3_,"axG",@progbits,_Z18warp_reduce_kernelIiLj64ELj100EENSt9enable_ifIXsr15benchmark_utilsE35device_test_enabled_for_warp_size_vIXT0_EEEvE4typeEPKT_PS3_,comdat
	.protected	_Z18warp_reduce_kernelIiLj64ELj100EENSt9enable_ifIXsr15benchmark_utilsE35device_test_enabled_for_warp_size_vIXT0_EEEvE4typeEPKT_PS3_ ; -- Begin function _Z18warp_reduce_kernelIiLj64ELj100EENSt9enable_ifIXsr15benchmark_utilsE35device_test_enabled_for_warp_size_vIXT0_EEEvE4typeEPKT_PS3_
	.globl	_Z18warp_reduce_kernelIiLj64ELj100EENSt9enable_ifIXsr15benchmark_utilsE35device_test_enabled_for_warp_size_vIXT0_EEEvE4typeEPKT_PS3_
	.p2align	8
	.type	_Z18warp_reduce_kernelIiLj64ELj100EENSt9enable_ifIXsr15benchmark_utilsE35device_test_enabled_for_warp_size_vIXT0_EEEvE4typeEPKT_PS3_,@function
_Z18warp_reduce_kernelIiLj64ELj100EENSt9enable_ifIXsr15benchmark_utilsE35device_test_enabled_for_warp_size_vIXT0_EEEvE4typeEPKT_PS3_: ; @_Z18warp_reduce_kernelIiLj64ELj100EENSt9enable_ifIXsr15benchmark_utilsE35device_test_enabled_for_warp_size_vIXT0_EEEvE4typeEPKT_PS3_
; %bb.0:
	s_load_dword s7, s[4:5], 0x1c
	s_load_dwordx4 s[0:3], s[4:5], 0x0
	v_mov_b32_e32 v1, 0
	v_bfrev_b32_e32 v4, 0.5
	s_waitcnt lgkmcnt(0)
	s_and_b32 s4, s7, 0xffff
	s_mul_i32 s6, s6, s4
	v_add_u32_e32 v0, s6, v0
	v_lshlrev_b64 v[0:1], 2, v[0:1]
	v_mov_b32_e32 v3, s1
	v_add_co_u32_e32 v2, vcc, s0, v0
	v_addc_co_u32_e32 v3, vcc, v3, v1, vcc
	global_load_dword v2, v[2:3], off
	v_mbcnt_lo_u32_b32 v3, -1, 0
	v_mbcnt_hi_u32_b32 v3, -1, v3
	v_lshl_or_b32 v3, v3, 2, v4
	s_movk_i32 s0, 0x64
.LBB6_1:                                ; =>This Inner Loop Header: Depth=1
	s_waitcnt vmcnt(0) lgkmcnt(0)
	v_mov_b32_dpp v4, v2 quad_perm:[1,0,3,2] row_mask:0xf bank_mask:0xf
	v_add_u32_e32 v2, v4, v2
	s_add_i32 s0, s0, -1
	s_cmp_eq_u32 s0, 0
	v_mov_b32_dpp v4, v2 quad_perm:[2,3,0,1] row_mask:0xf bank_mask:0xf
	v_add_u32_e32 v2, v2, v4
	s_nop 1
	v_mov_b32_dpp v4, v2 row_ror:4 row_mask:0xf bank_mask:0xf
	v_add_u32_e32 v2, v2, v4
	s_nop 1
	v_mov_b32_dpp v4, v2 row_ror:8 row_mask:0xf bank_mask:0xf
	v_add_u32_e32 v2, v2, v4
	s_nop 1
	v_mov_b32_dpp v4, v2 row_bcast:15 row_mask:0xf bank_mask:0xf
	v_add_u32_e32 v2, v2, v4
	s_nop 1
	v_mov_b32_dpp v4, v2 row_bcast:31 row_mask:0xf bank_mask:0xf
	v_add_u32_e32 v2, v2, v4
	ds_bpermute_b32 v2, v3, v2
	s_cbranch_scc0 .LBB6_1
; %bb.2:
	v_mov_b32_e32 v3, s3
	v_add_co_u32_e32 v0, vcc, s2, v0
	v_addc_co_u32_e32 v1, vcc, v3, v1, vcc
	s_waitcnt lgkmcnt(0)
	global_store_dword v[0:1], v2, off
	s_endpgm
	.section	.rodata,"a",@progbits
	.p2align	6, 0x0
	.amdhsa_kernel _Z18warp_reduce_kernelIiLj64ELj100EENSt9enable_ifIXsr15benchmark_utilsE35device_test_enabled_for_warp_size_vIXT0_EEEvE4typeEPKT_PS3_
		.amdhsa_group_segment_fixed_size 0
		.amdhsa_private_segment_fixed_size 0
		.amdhsa_kernarg_size 272
		.amdhsa_user_sgpr_count 6
		.amdhsa_user_sgpr_private_segment_buffer 1
		.amdhsa_user_sgpr_dispatch_ptr 0
		.amdhsa_user_sgpr_queue_ptr 0
		.amdhsa_user_sgpr_kernarg_segment_ptr 1
		.amdhsa_user_sgpr_dispatch_id 0
		.amdhsa_user_sgpr_flat_scratch_init 0
		.amdhsa_user_sgpr_private_segment_size 0
		.amdhsa_uses_dynamic_stack 0
		.amdhsa_system_sgpr_private_segment_wavefront_offset 0
		.amdhsa_system_sgpr_workgroup_id_x 1
		.amdhsa_system_sgpr_workgroup_id_y 0
		.amdhsa_system_sgpr_workgroup_id_z 0
		.amdhsa_system_sgpr_workgroup_info 0
		.amdhsa_system_vgpr_workitem_id 0
		.amdhsa_next_free_vgpr 5
		.amdhsa_next_free_sgpr 8
		.amdhsa_reserve_vcc 1
		.amdhsa_reserve_flat_scratch 0
		.amdhsa_float_round_mode_32 0
		.amdhsa_float_round_mode_16_64 0
		.amdhsa_float_denorm_mode_32 3
		.amdhsa_float_denorm_mode_16_64 3
		.amdhsa_dx10_clamp 1
		.amdhsa_ieee_mode 1
		.amdhsa_fp16_overflow 0
		.amdhsa_exception_fp_ieee_invalid_op 0
		.amdhsa_exception_fp_denorm_src 0
		.amdhsa_exception_fp_ieee_div_zero 0
		.amdhsa_exception_fp_ieee_overflow 0
		.amdhsa_exception_fp_ieee_underflow 0
		.amdhsa_exception_fp_ieee_inexact 0
		.amdhsa_exception_int_div_zero 0
	.end_amdhsa_kernel
	.section	.text._Z18warp_reduce_kernelIiLj64ELj100EENSt9enable_ifIXsr15benchmark_utilsE35device_test_enabled_for_warp_size_vIXT0_EEEvE4typeEPKT_PS3_,"axG",@progbits,_Z18warp_reduce_kernelIiLj64ELj100EENSt9enable_ifIXsr15benchmark_utilsE35device_test_enabled_for_warp_size_vIXT0_EEEvE4typeEPKT_PS3_,comdat
.Lfunc_end6:
	.size	_Z18warp_reduce_kernelIiLj64ELj100EENSt9enable_ifIXsr15benchmark_utilsE35device_test_enabled_for_warp_size_vIXT0_EEEvE4typeEPKT_PS3_, .Lfunc_end6-_Z18warp_reduce_kernelIiLj64ELj100EENSt9enable_ifIXsr15benchmark_utilsE35device_test_enabled_for_warp_size_vIXT0_EEEvE4typeEPKT_PS3_
                                        ; -- End function
	.set _Z18warp_reduce_kernelIiLj64ELj100EENSt9enable_ifIXsr15benchmark_utilsE35device_test_enabled_for_warp_size_vIXT0_EEEvE4typeEPKT_PS3_.num_vgpr, 5
	.set _Z18warp_reduce_kernelIiLj64ELj100EENSt9enable_ifIXsr15benchmark_utilsE35device_test_enabled_for_warp_size_vIXT0_EEEvE4typeEPKT_PS3_.num_agpr, 0
	.set _Z18warp_reduce_kernelIiLj64ELj100EENSt9enable_ifIXsr15benchmark_utilsE35device_test_enabled_for_warp_size_vIXT0_EEEvE4typeEPKT_PS3_.numbered_sgpr, 8
	.set _Z18warp_reduce_kernelIiLj64ELj100EENSt9enable_ifIXsr15benchmark_utilsE35device_test_enabled_for_warp_size_vIXT0_EEEvE4typeEPKT_PS3_.num_named_barrier, 0
	.set _Z18warp_reduce_kernelIiLj64ELj100EENSt9enable_ifIXsr15benchmark_utilsE35device_test_enabled_for_warp_size_vIXT0_EEEvE4typeEPKT_PS3_.private_seg_size, 0
	.set _Z18warp_reduce_kernelIiLj64ELj100EENSt9enable_ifIXsr15benchmark_utilsE35device_test_enabled_for_warp_size_vIXT0_EEEvE4typeEPKT_PS3_.uses_vcc, 1
	.set _Z18warp_reduce_kernelIiLj64ELj100EENSt9enable_ifIXsr15benchmark_utilsE35device_test_enabled_for_warp_size_vIXT0_EEEvE4typeEPKT_PS3_.uses_flat_scratch, 0
	.set _Z18warp_reduce_kernelIiLj64ELj100EENSt9enable_ifIXsr15benchmark_utilsE35device_test_enabled_for_warp_size_vIXT0_EEEvE4typeEPKT_PS3_.has_dyn_sized_stack, 0
	.set _Z18warp_reduce_kernelIiLj64ELj100EENSt9enable_ifIXsr15benchmark_utilsE35device_test_enabled_for_warp_size_vIXT0_EEEvE4typeEPKT_PS3_.has_recursion, 0
	.set _Z18warp_reduce_kernelIiLj64ELj100EENSt9enable_ifIXsr15benchmark_utilsE35device_test_enabled_for_warp_size_vIXT0_EEEvE4typeEPKT_PS3_.has_indirect_call, 0
	.section	.AMDGPU.csdata,"",@progbits
; Kernel info:
; codeLenInByte = 240
; TotalNumSgprs: 12
; NumVgprs: 5
; ScratchSize: 0
; MemoryBound: 0
; FloatMode: 240
; IeeeMode: 1
; LDSByteSize: 0 bytes/workgroup (compile time only)
; SGPRBlocks: 1
; VGPRBlocks: 1
; NumSGPRsForWavesPerEU: 12
; NumVGPRsForWavesPerEU: 5
; Occupancy: 10
; WaveLimiterHint : 0
; COMPUTE_PGM_RSRC2:SCRATCH_EN: 0
; COMPUTE_PGM_RSRC2:USER_SGPR: 6
; COMPUTE_PGM_RSRC2:TRAP_HANDLER: 0
; COMPUTE_PGM_RSRC2:TGID_X_EN: 1
; COMPUTE_PGM_RSRC2:TGID_Y_EN: 0
; COMPUTE_PGM_RSRC2:TGID_Z_EN: 0
; COMPUTE_PGM_RSRC2:TIDIG_COMP_CNT: 0
	.section	.text._Z18warp_reduce_kernelIfLj15ELj100EENSt9enable_ifIXsr15benchmark_utilsE35device_test_enabled_for_warp_size_vIXT0_EEEvE4typeEPKT_PS3_,"axG",@progbits,_Z18warp_reduce_kernelIfLj15ELj100EENSt9enable_ifIXsr15benchmark_utilsE35device_test_enabled_for_warp_size_vIXT0_EEEvE4typeEPKT_PS3_,comdat
	.protected	_Z18warp_reduce_kernelIfLj15ELj100EENSt9enable_ifIXsr15benchmark_utilsE35device_test_enabled_for_warp_size_vIXT0_EEEvE4typeEPKT_PS3_ ; -- Begin function _Z18warp_reduce_kernelIfLj15ELj100EENSt9enable_ifIXsr15benchmark_utilsE35device_test_enabled_for_warp_size_vIXT0_EEEvE4typeEPKT_PS3_
	.globl	_Z18warp_reduce_kernelIfLj15ELj100EENSt9enable_ifIXsr15benchmark_utilsE35device_test_enabled_for_warp_size_vIXT0_EEEvE4typeEPKT_PS3_
	.p2align	8
	.type	_Z18warp_reduce_kernelIfLj15ELj100EENSt9enable_ifIXsr15benchmark_utilsE35device_test_enabled_for_warp_size_vIXT0_EEEvE4typeEPKT_PS3_,@function
_Z18warp_reduce_kernelIfLj15ELj100EENSt9enable_ifIXsr15benchmark_utilsE35device_test_enabled_for_warp_size_vIXT0_EEEvE4typeEPKT_PS3_: ; @_Z18warp_reduce_kernelIfLj15ELj100EENSt9enable_ifIXsr15benchmark_utilsE35device_test_enabled_for_warp_size_vIXT0_EEEvE4typeEPKT_PS3_
; %bb.0:
	s_load_dword s0, s[4:5], 0x1c
	s_load_dwordx4 s[8:11], s[4:5], 0x0
	v_mov_b32_e32 v1, 0
	s_waitcnt lgkmcnt(0)
	s_and_b32 s0, s0, 0xffff
	s_mul_i32 s6, s6, s0
	v_add_u32_e32 v0, s6, v0
	v_lshlrev_b64 v[0:1], 2, v[0:1]
	v_mov_b32_e32 v3, s9
	v_add_co_u32_e32 v2, vcc, s8, v0
	v_addc_co_u32_e32 v3, vcc, v3, v1, vcc
	global_load_dword v2, v[2:3], off
	v_mbcnt_lo_u32_b32 v3, -1, 0
	v_mbcnt_hi_u32_b32 v3, -1, v3
	s_mov_b32 s0, 0x11111112
	v_mul_hi_u32 v4, v3, s0
	s_movk_i32 s8, 0x64
	v_mul_u32_u24_e32 v4, 15, v4
	v_sub_u32_e32 v4, v3, v4
	v_lshlrev_b32_e32 v3, 2, v4
	v_cmp_gt_u32_e32 vcc, 7, v4
	v_cmp_gt_u32_e64 s[0:1], 4, v4
	v_cmp_gt_u32_e64 s[2:3], 2, v4
	v_cmp_eq_u32_e64 s[4:5], 0, v4
	s_branch .LBB7_2
.LBB7_1:                                ;   in Loop: Header=BB7_2 Depth=1
	s_or_b64 exec, exec, s[6:7]
	s_add_i32 s8, s8, -1
	s_cmp_eq_u32 s8, 0
	; wave barrier
	s_cbranch_scc1 .LBB7_18
.LBB7_2:                                ; =>This Inner Loop Header: Depth=1
	s_waitcnt vmcnt(0)
	ds_write_b32 v3, v2
	; wave barrier
	s_and_saveexec_b64 s[6:7], vcc
	s_cbranch_execz .LBB7_4
; %bb.3:                                ;   in Loop: Header=BB7_2 Depth=1
	ds_read2_b32 v[4:5], v3 offset1:8
	s_waitcnt lgkmcnt(0)
	v_add_f32_e32 v2, v4, v5
.LBB7_4:                                ;   in Loop: Header=BB7_2 Depth=1
	s_or_b64 exec, exec, s[6:7]
	; wave barrier
	s_and_saveexec_b64 s[6:7], vcc
; %bb.5:                                ;   in Loop: Header=BB7_2 Depth=1
	ds_write_b32 v3, v2
; %bb.6:                                ;   in Loop: Header=BB7_2 Depth=1
	s_or_b64 exec, exec, s[6:7]
	; wave barrier
	s_and_saveexec_b64 s[6:7], s[0:1]
	s_cbranch_execz .LBB7_8
; %bb.7:                                ;   in Loop: Header=BB7_2 Depth=1
	ds_read2_b32 v[4:5], v3 offset1:4
	s_waitcnt lgkmcnt(0)
	v_add_f32_e32 v2, v4, v5
.LBB7_8:                                ;   in Loop: Header=BB7_2 Depth=1
	s_or_b64 exec, exec, s[6:7]
	; wave barrier
	s_and_saveexec_b64 s[6:7], s[0:1]
; %bb.9:                                ;   in Loop: Header=BB7_2 Depth=1
	ds_write_b32 v3, v2
; %bb.10:                               ;   in Loop: Header=BB7_2 Depth=1
	s_or_b64 exec, exec, s[6:7]
	; wave barrier
	s_and_saveexec_b64 s[6:7], s[2:3]
	s_cbranch_execz .LBB7_12
; %bb.11:                               ;   in Loop: Header=BB7_2 Depth=1
	ds_read2_b32 v[4:5], v3 offset1:2
	s_waitcnt lgkmcnt(0)
	v_add_f32_e32 v2, v4, v5
.LBB7_12:                               ;   in Loop: Header=BB7_2 Depth=1
	s_or_b64 exec, exec, s[6:7]
	; wave barrier
	s_and_saveexec_b64 s[6:7], s[2:3]
; %bb.13:                               ;   in Loop: Header=BB7_2 Depth=1
	ds_write_b32 v3, v2
; %bb.14:                               ;   in Loop: Header=BB7_2 Depth=1
	s_or_b64 exec, exec, s[6:7]
	; wave barrier
	s_and_saveexec_b64 s[6:7], s[4:5]
	s_cbranch_execz .LBB7_16
; %bb.15:                               ;   in Loop: Header=BB7_2 Depth=1
	ds_read2_b32 v[4:5], v3 offset1:1
	s_waitcnt lgkmcnt(0)
	v_add_f32_e32 v2, v4, v5
.LBB7_16:                               ;   in Loop: Header=BB7_2 Depth=1
	s_or_b64 exec, exec, s[6:7]
	; wave barrier
	s_and_saveexec_b64 s[6:7], s[4:5]
	s_cbranch_execz .LBB7_1
; %bb.17:                               ;   in Loop: Header=BB7_2 Depth=1
	ds_write_b32 v3, v2
	s_branch .LBB7_1
.LBB7_18:
	v_mov_b32_e32 v3, s11
	v_add_co_u32_e32 v0, vcc, s10, v0
	v_addc_co_u32_e32 v1, vcc, v3, v1, vcc
	global_store_dword v[0:1], v2, off
	s_endpgm
	.section	.rodata,"a",@progbits
	.p2align	6, 0x0
	.amdhsa_kernel _Z18warp_reduce_kernelIfLj15ELj100EENSt9enable_ifIXsr15benchmark_utilsE35device_test_enabled_for_warp_size_vIXT0_EEEvE4typeEPKT_PS3_
		.amdhsa_group_segment_fixed_size 60
		.amdhsa_private_segment_fixed_size 0
		.amdhsa_kernarg_size 272
		.amdhsa_user_sgpr_count 6
		.amdhsa_user_sgpr_private_segment_buffer 1
		.amdhsa_user_sgpr_dispatch_ptr 0
		.amdhsa_user_sgpr_queue_ptr 0
		.amdhsa_user_sgpr_kernarg_segment_ptr 1
		.amdhsa_user_sgpr_dispatch_id 0
		.amdhsa_user_sgpr_flat_scratch_init 0
		.amdhsa_user_sgpr_private_segment_size 0
		.amdhsa_uses_dynamic_stack 0
		.amdhsa_system_sgpr_private_segment_wavefront_offset 0
		.amdhsa_system_sgpr_workgroup_id_x 1
		.amdhsa_system_sgpr_workgroup_id_y 0
		.amdhsa_system_sgpr_workgroup_id_z 0
		.amdhsa_system_sgpr_workgroup_info 0
		.amdhsa_system_vgpr_workitem_id 0
		.amdhsa_next_free_vgpr 6
		.amdhsa_next_free_sgpr 12
		.amdhsa_reserve_vcc 1
		.amdhsa_reserve_flat_scratch 0
		.amdhsa_float_round_mode_32 0
		.amdhsa_float_round_mode_16_64 0
		.amdhsa_float_denorm_mode_32 3
		.amdhsa_float_denorm_mode_16_64 3
		.amdhsa_dx10_clamp 1
		.amdhsa_ieee_mode 1
		.amdhsa_fp16_overflow 0
		.amdhsa_exception_fp_ieee_invalid_op 0
		.amdhsa_exception_fp_denorm_src 0
		.amdhsa_exception_fp_ieee_div_zero 0
		.amdhsa_exception_fp_ieee_overflow 0
		.amdhsa_exception_fp_ieee_underflow 0
		.amdhsa_exception_fp_ieee_inexact 0
		.amdhsa_exception_int_div_zero 0
	.end_amdhsa_kernel
	.section	.text._Z18warp_reduce_kernelIfLj15ELj100EENSt9enable_ifIXsr15benchmark_utilsE35device_test_enabled_for_warp_size_vIXT0_EEEvE4typeEPKT_PS3_,"axG",@progbits,_Z18warp_reduce_kernelIfLj15ELj100EENSt9enable_ifIXsr15benchmark_utilsE35device_test_enabled_for_warp_size_vIXT0_EEEvE4typeEPKT_PS3_,comdat
.Lfunc_end7:
	.size	_Z18warp_reduce_kernelIfLj15ELj100EENSt9enable_ifIXsr15benchmark_utilsE35device_test_enabled_for_warp_size_vIXT0_EEEvE4typeEPKT_PS3_, .Lfunc_end7-_Z18warp_reduce_kernelIfLj15ELj100EENSt9enable_ifIXsr15benchmark_utilsE35device_test_enabled_for_warp_size_vIXT0_EEEvE4typeEPKT_PS3_
                                        ; -- End function
	.set _Z18warp_reduce_kernelIfLj15ELj100EENSt9enable_ifIXsr15benchmark_utilsE35device_test_enabled_for_warp_size_vIXT0_EEEvE4typeEPKT_PS3_.num_vgpr, 6
	.set _Z18warp_reduce_kernelIfLj15ELj100EENSt9enable_ifIXsr15benchmark_utilsE35device_test_enabled_for_warp_size_vIXT0_EEEvE4typeEPKT_PS3_.num_agpr, 0
	.set _Z18warp_reduce_kernelIfLj15ELj100EENSt9enable_ifIXsr15benchmark_utilsE35device_test_enabled_for_warp_size_vIXT0_EEEvE4typeEPKT_PS3_.numbered_sgpr, 12
	.set _Z18warp_reduce_kernelIfLj15ELj100EENSt9enable_ifIXsr15benchmark_utilsE35device_test_enabled_for_warp_size_vIXT0_EEEvE4typeEPKT_PS3_.num_named_barrier, 0
	.set _Z18warp_reduce_kernelIfLj15ELj100EENSt9enable_ifIXsr15benchmark_utilsE35device_test_enabled_for_warp_size_vIXT0_EEEvE4typeEPKT_PS3_.private_seg_size, 0
	.set _Z18warp_reduce_kernelIfLj15ELj100EENSt9enable_ifIXsr15benchmark_utilsE35device_test_enabled_for_warp_size_vIXT0_EEEvE4typeEPKT_PS3_.uses_vcc, 1
	.set _Z18warp_reduce_kernelIfLj15ELj100EENSt9enable_ifIXsr15benchmark_utilsE35device_test_enabled_for_warp_size_vIXT0_EEEvE4typeEPKT_PS3_.uses_flat_scratch, 0
	.set _Z18warp_reduce_kernelIfLj15ELj100EENSt9enable_ifIXsr15benchmark_utilsE35device_test_enabled_for_warp_size_vIXT0_EEEvE4typeEPKT_PS3_.has_dyn_sized_stack, 0
	.set _Z18warp_reduce_kernelIfLj15ELj100EENSt9enable_ifIXsr15benchmark_utilsE35device_test_enabled_for_warp_size_vIXT0_EEEvE4typeEPKT_PS3_.has_recursion, 0
	.set _Z18warp_reduce_kernelIfLj15ELj100EENSt9enable_ifIXsr15benchmark_utilsE35device_test_enabled_for_warp_size_vIXT0_EEEvE4typeEPKT_PS3_.has_indirect_call, 0
	.section	.AMDGPU.csdata,"",@progbits
; Kernel info:
; codeLenInByte = 380
; TotalNumSgprs: 16
; NumVgprs: 6
; ScratchSize: 0
; MemoryBound: 0
; FloatMode: 240
; IeeeMode: 1
; LDSByteSize: 60 bytes/workgroup (compile time only)
; SGPRBlocks: 1
; VGPRBlocks: 1
; NumSGPRsForWavesPerEU: 16
; NumVGPRsForWavesPerEU: 6
; Occupancy: 10
; WaveLimiterHint : 0
; COMPUTE_PGM_RSRC2:SCRATCH_EN: 0
; COMPUTE_PGM_RSRC2:USER_SGPR: 6
; COMPUTE_PGM_RSRC2:TRAP_HANDLER: 0
; COMPUTE_PGM_RSRC2:TGID_X_EN: 1
; COMPUTE_PGM_RSRC2:TGID_Y_EN: 0
; COMPUTE_PGM_RSRC2:TGID_Z_EN: 0
; COMPUTE_PGM_RSRC2:TIDIG_COMP_CNT: 0
	.section	.text._Z18warp_reduce_kernelIfLj16ELj100EENSt9enable_ifIXsr15benchmark_utilsE35device_test_enabled_for_warp_size_vIXT0_EEEvE4typeEPKT_PS3_,"axG",@progbits,_Z18warp_reduce_kernelIfLj16ELj100EENSt9enable_ifIXsr15benchmark_utilsE35device_test_enabled_for_warp_size_vIXT0_EEEvE4typeEPKT_PS3_,comdat
	.protected	_Z18warp_reduce_kernelIfLj16ELj100EENSt9enable_ifIXsr15benchmark_utilsE35device_test_enabled_for_warp_size_vIXT0_EEEvE4typeEPKT_PS3_ ; -- Begin function _Z18warp_reduce_kernelIfLj16ELj100EENSt9enable_ifIXsr15benchmark_utilsE35device_test_enabled_for_warp_size_vIXT0_EEEvE4typeEPKT_PS3_
	.globl	_Z18warp_reduce_kernelIfLj16ELj100EENSt9enable_ifIXsr15benchmark_utilsE35device_test_enabled_for_warp_size_vIXT0_EEEvE4typeEPKT_PS3_
	.p2align	8
	.type	_Z18warp_reduce_kernelIfLj16ELj100EENSt9enable_ifIXsr15benchmark_utilsE35device_test_enabled_for_warp_size_vIXT0_EEEvE4typeEPKT_PS3_,@function
_Z18warp_reduce_kernelIfLj16ELj100EENSt9enable_ifIXsr15benchmark_utilsE35device_test_enabled_for_warp_size_vIXT0_EEEvE4typeEPKT_PS3_: ; @_Z18warp_reduce_kernelIfLj16ELj100EENSt9enable_ifIXsr15benchmark_utilsE35device_test_enabled_for_warp_size_vIXT0_EEEvE4typeEPKT_PS3_
; %bb.0:
	s_load_dword s7, s[4:5], 0x1c
	s_load_dwordx4 s[0:3], s[4:5], 0x0
	v_mov_b32_e32 v1, 0
	s_waitcnt lgkmcnt(0)
	s_and_b32 s4, s7, 0xffff
	s_mul_i32 s6, s6, s4
	v_add_u32_e32 v0, s6, v0
	v_lshlrev_b64 v[0:1], 2, v[0:1]
	v_mov_b32_e32 v3, s1
	v_add_co_u32_e32 v2, vcc, s0, v0
	v_addc_co_u32_e32 v3, vcc, v3, v1, vcc
	global_load_dword v2, v[2:3], off
	v_mbcnt_lo_u32_b32 v3, -1, 0
	v_mbcnt_hi_u32_b32 v6, -1, v3
	v_and_b32_e32 v5, 15, v6
	v_cmp_ne_u32_e32 vcc, 15, v5
	v_addc_co_u32_e32 v3, vcc, 0, v6, vcc
	v_cmp_gt_u32_e32 vcc, 14, v5
	v_cndmask_b32_e64 v4, 0, 2, vcc
	v_cmp_gt_u32_e32 vcc, 12, v5
	v_cndmask_b32_e64 v5, 0, 4, vcc
	v_lshlrev_b32_e32 v3, 2, v3
	v_add_lshl_u32 v4, v4, v6, 2
	v_add_lshl_u32 v5, v5, v6, 2
	v_lshl_or_b32 v6, v6, 2, 32
	s_movk_i32 s0, 0x64
.LBB8_1:                                ; =>This Inner Loop Header: Depth=1
	s_waitcnt vmcnt(0)
	ds_bpermute_b32 v7, v3, v2
	s_add_i32 s0, s0, -1
	s_cmp_eq_u32 s0, 0
	s_waitcnt lgkmcnt(0)
	v_add_f32_e32 v2, v2, v7
	ds_bpermute_b32 v7, v4, v2
	s_waitcnt lgkmcnt(0)
	v_add_f32_e32 v2, v2, v7
	ds_bpermute_b32 v7, v5, v2
	;; [unrolled: 3-line block ×3, first 2 shown]
	s_waitcnt lgkmcnt(0)
	v_add_f32_e32 v2, v2, v7
	s_cbranch_scc0 .LBB8_1
; %bb.2:
	v_mov_b32_e32 v3, s3
	v_add_co_u32_e32 v0, vcc, s2, v0
	v_addc_co_u32_e32 v1, vcc, v3, v1, vcc
	global_store_dword v[0:1], v2, off
	s_endpgm
	.section	.rodata,"a",@progbits
	.p2align	6, 0x0
	.amdhsa_kernel _Z18warp_reduce_kernelIfLj16ELj100EENSt9enable_ifIXsr15benchmark_utilsE35device_test_enabled_for_warp_size_vIXT0_EEEvE4typeEPKT_PS3_
		.amdhsa_group_segment_fixed_size 0
		.amdhsa_private_segment_fixed_size 0
		.amdhsa_kernarg_size 272
		.amdhsa_user_sgpr_count 6
		.amdhsa_user_sgpr_private_segment_buffer 1
		.amdhsa_user_sgpr_dispatch_ptr 0
		.amdhsa_user_sgpr_queue_ptr 0
		.amdhsa_user_sgpr_kernarg_segment_ptr 1
		.amdhsa_user_sgpr_dispatch_id 0
		.amdhsa_user_sgpr_flat_scratch_init 0
		.amdhsa_user_sgpr_private_segment_size 0
		.amdhsa_uses_dynamic_stack 0
		.amdhsa_system_sgpr_private_segment_wavefront_offset 0
		.amdhsa_system_sgpr_workgroup_id_x 1
		.amdhsa_system_sgpr_workgroup_id_y 0
		.amdhsa_system_sgpr_workgroup_id_z 0
		.amdhsa_system_sgpr_workgroup_info 0
		.amdhsa_system_vgpr_workitem_id 0
		.amdhsa_next_free_vgpr 8
		.amdhsa_next_free_sgpr 8
		.amdhsa_reserve_vcc 1
		.amdhsa_reserve_flat_scratch 0
		.amdhsa_float_round_mode_32 0
		.amdhsa_float_round_mode_16_64 0
		.amdhsa_float_denorm_mode_32 3
		.amdhsa_float_denorm_mode_16_64 3
		.amdhsa_dx10_clamp 1
		.amdhsa_ieee_mode 1
		.amdhsa_fp16_overflow 0
		.amdhsa_exception_fp_ieee_invalid_op 0
		.amdhsa_exception_fp_denorm_src 0
		.amdhsa_exception_fp_ieee_div_zero 0
		.amdhsa_exception_fp_ieee_overflow 0
		.amdhsa_exception_fp_ieee_underflow 0
		.amdhsa_exception_fp_ieee_inexact 0
		.amdhsa_exception_int_div_zero 0
	.end_amdhsa_kernel
	.section	.text._Z18warp_reduce_kernelIfLj16ELj100EENSt9enable_ifIXsr15benchmark_utilsE35device_test_enabled_for_warp_size_vIXT0_EEEvE4typeEPKT_PS3_,"axG",@progbits,_Z18warp_reduce_kernelIfLj16ELj100EENSt9enable_ifIXsr15benchmark_utilsE35device_test_enabled_for_warp_size_vIXT0_EEEvE4typeEPKT_PS3_,comdat
.Lfunc_end8:
	.size	_Z18warp_reduce_kernelIfLj16ELj100EENSt9enable_ifIXsr15benchmark_utilsE35device_test_enabled_for_warp_size_vIXT0_EEEvE4typeEPKT_PS3_, .Lfunc_end8-_Z18warp_reduce_kernelIfLj16ELj100EENSt9enable_ifIXsr15benchmark_utilsE35device_test_enabled_for_warp_size_vIXT0_EEEvE4typeEPKT_PS3_
                                        ; -- End function
	.set _Z18warp_reduce_kernelIfLj16ELj100EENSt9enable_ifIXsr15benchmark_utilsE35device_test_enabled_for_warp_size_vIXT0_EEEvE4typeEPKT_PS3_.num_vgpr, 8
	.set _Z18warp_reduce_kernelIfLj16ELj100EENSt9enable_ifIXsr15benchmark_utilsE35device_test_enabled_for_warp_size_vIXT0_EEEvE4typeEPKT_PS3_.num_agpr, 0
	.set _Z18warp_reduce_kernelIfLj16ELj100EENSt9enable_ifIXsr15benchmark_utilsE35device_test_enabled_for_warp_size_vIXT0_EEEvE4typeEPKT_PS3_.numbered_sgpr, 8
	.set _Z18warp_reduce_kernelIfLj16ELj100EENSt9enable_ifIXsr15benchmark_utilsE35device_test_enabled_for_warp_size_vIXT0_EEEvE4typeEPKT_PS3_.num_named_barrier, 0
	.set _Z18warp_reduce_kernelIfLj16ELj100EENSt9enable_ifIXsr15benchmark_utilsE35device_test_enabled_for_warp_size_vIXT0_EEEvE4typeEPKT_PS3_.private_seg_size, 0
	.set _Z18warp_reduce_kernelIfLj16ELj100EENSt9enable_ifIXsr15benchmark_utilsE35device_test_enabled_for_warp_size_vIXT0_EEEvE4typeEPKT_PS3_.uses_vcc, 1
	.set _Z18warp_reduce_kernelIfLj16ELj100EENSt9enable_ifIXsr15benchmark_utilsE35device_test_enabled_for_warp_size_vIXT0_EEEvE4typeEPKT_PS3_.uses_flat_scratch, 0
	.set _Z18warp_reduce_kernelIfLj16ELj100EENSt9enable_ifIXsr15benchmark_utilsE35device_test_enabled_for_warp_size_vIXT0_EEEvE4typeEPKT_PS3_.has_dyn_sized_stack, 0
	.set _Z18warp_reduce_kernelIfLj16ELj100EENSt9enable_ifIXsr15benchmark_utilsE35device_test_enabled_for_warp_size_vIXT0_EEEvE4typeEPKT_PS3_.has_recursion, 0
	.set _Z18warp_reduce_kernelIfLj16ELj100EENSt9enable_ifIXsr15benchmark_utilsE35device_test_enabled_for_warp_size_vIXT0_EEEvE4typeEPKT_PS3_.has_indirect_call, 0
	.section	.AMDGPU.csdata,"",@progbits
; Kernel info:
; codeLenInByte = 256
; TotalNumSgprs: 12
; NumVgprs: 8
; ScratchSize: 0
; MemoryBound: 0
; FloatMode: 240
; IeeeMode: 1
; LDSByteSize: 0 bytes/workgroup (compile time only)
; SGPRBlocks: 1
; VGPRBlocks: 1
; NumSGPRsForWavesPerEU: 12
; NumVGPRsForWavesPerEU: 8
; Occupancy: 10
; WaveLimiterHint : 0
; COMPUTE_PGM_RSRC2:SCRATCH_EN: 0
; COMPUTE_PGM_RSRC2:USER_SGPR: 6
; COMPUTE_PGM_RSRC2:TRAP_HANDLER: 0
; COMPUTE_PGM_RSRC2:TGID_X_EN: 1
; COMPUTE_PGM_RSRC2:TGID_Y_EN: 0
; COMPUTE_PGM_RSRC2:TGID_Z_EN: 0
; COMPUTE_PGM_RSRC2:TIDIG_COMP_CNT: 0
	.section	.text._Z18warp_reduce_kernelIfLj31ELj100EENSt9enable_ifIXsr15benchmark_utilsE35device_test_enabled_for_warp_size_vIXT0_EEEvE4typeEPKT_PS3_,"axG",@progbits,_Z18warp_reduce_kernelIfLj31ELj100EENSt9enable_ifIXsr15benchmark_utilsE35device_test_enabled_for_warp_size_vIXT0_EEEvE4typeEPKT_PS3_,comdat
	.protected	_Z18warp_reduce_kernelIfLj31ELj100EENSt9enable_ifIXsr15benchmark_utilsE35device_test_enabled_for_warp_size_vIXT0_EEEvE4typeEPKT_PS3_ ; -- Begin function _Z18warp_reduce_kernelIfLj31ELj100EENSt9enable_ifIXsr15benchmark_utilsE35device_test_enabled_for_warp_size_vIXT0_EEEvE4typeEPKT_PS3_
	.globl	_Z18warp_reduce_kernelIfLj31ELj100EENSt9enable_ifIXsr15benchmark_utilsE35device_test_enabled_for_warp_size_vIXT0_EEEvE4typeEPKT_PS3_
	.p2align	8
	.type	_Z18warp_reduce_kernelIfLj31ELj100EENSt9enable_ifIXsr15benchmark_utilsE35device_test_enabled_for_warp_size_vIXT0_EEEvE4typeEPKT_PS3_,@function
_Z18warp_reduce_kernelIfLj31ELj100EENSt9enable_ifIXsr15benchmark_utilsE35device_test_enabled_for_warp_size_vIXT0_EEEvE4typeEPKT_PS3_: ; @_Z18warp_reduce_kernelIfLj31ELj100EENSt9enable_ifIXsr15benchmark_utilsE35device_test_enabled_for_warp_size_vIXT0_EEEvE4typeEPKT_PS3_
; %bb.0:
	s_load_dword s0, s[4:5], 0x1c
	s_load_dwordx4 s[8:11], s[4:5], 0x0
	v_mov_b32_e32 v1, 0
	s_movk_i32 s12, 0x64
	s_waitcnt lgkmcnt(0)
	s_and_b32 s0, s0, 0xffff
	s_mul_i32 s6, s6, s0
	v_add_u32_e32 v0, s6, v0
	v_lshlrev_b64 v[0:1], 2, v[0:1]
	v_mov_b32_e32 v3, s9
	v_add_co_u32_e32 v2, vcc, s8, v0
	v_addc_co_u32_e32 v3, vcc, v3, v1, vcc
	global_load_dword v2, v[2:3], off
	v_mbcnt_lo_u32_b32 v3, -1, 0
	v_mbcnt_hi_u32_b32 v3, -1, v3
	s_mov_b32 s0, 0x8421085
	v_mul_hi_u32 v4, v3, s0
	v_mul_u32_u24_e32 v4, 31, v4
	v_sub_u32_e32 v4, v3, v4
	v_lshlrev_b32_e32 v3, 2, v4
	v_cmp_gt_u32_e32 vcc, 15, v4
	v_cmp_gt_u32_e64 s[0:1], 8, v4
	v_cmp_gt_u32_e64 s[2:3], 4, v4
	v_cmp_gt_u32_e64 s[4:5], 2, v4
	v_cmp_eq_u32_e64 s[6:7], 0, v4
	s_branch .LBB9_2
.LBB9_1:                                ;   in Loop: Header=BB9_2 Depth=1
	s_or_b64 exec, exec, s[8:9]
	s_add_i32 s12, s12, -1
	s_cmp_eq_u32 s12, 0
	; wave barrier
	s_cbranch_scc1 .LBB9_22
.LBB9_2:                                ; =>This Inner Loop Header: Depth=1
	s_waitcnt vmcnt(0)
	ds_write_b32 v3, v2
	; wave barrier
	s_and_saveexec_b64 s[8:9], vcc
	s_cbranch_execz .LBB9_4
; %bb.3:                                ;   in Loop: Header=BB9_2 Depth=1
	ds_read2_b32 v[4:5], v3 offset1:16
	s_waitcnt lgkmcnt(0)
	v_add_f32_e32 v2, v4, v5
.LBB9_4:                                ;   in Loop: Header=BB9_2 Depth=1
	s_or_b64 exec, exec, s[8:9]
	; wave barrier
	s_and_saveexec_b64 s[8:9], vcc
; %bb.5:                                ;   in Loop: Header=BB9_2 Depth=1
	ds_write_b32 v3, v2
; %bb.6:                                ;   in Loop: Header=BB9_2 Depth=1
	s_or_b64 exec, exec, s[8:9]
	; wave barrier
	s_and_saveexec_b64 s[8:9], s[0:1]
	s_cbranch_execz .LBB9_8
; %bb.7:                                ;   in Loop: Header=BB9_2 Depth=1
	ds_read2_b32 v[4:5], v3 offset1:8
	s_waitcnt lgkmcnt(0)
	v_add_f32_e32 v2, v4, v5
.LBB9_8:                                ;   in Loop: Header=BB9_2 Depth=1
	s_or_b64 exec, exec, s[8:9]
	; wave barrier
	s_and_saveexec_b64 s[8:9], s[0:1]
; %bb.9:                                ;   in Loop: Header=BB9_2 Depth=1
	ds_write_b32 v3, v2
; %bb.10:                               ;   in Loop: Header=BB9_2 Depth=1
	s_or_b64 exec, exec, s[8:9]
	; wave barrier
	s_and_saveexec_b64 s[8:9], s[2:3]
	s_cbranch_execz .LBB9_12
; %bb.11:                               ;   in Loop: Header=BB9_2 Depth=1
	ds_read2_b32 v[4:5], v3 offset1:4
	s_waitcnt lgkmcnt(0)
	v_add_f32_e32 v2, v4, v5
.LBB9_12:                               ;   in Loop: Header=BB9_2 Depth=1
	s_or_b64 exec, exec, s[8:9]
	; wave barrier
	s_and_saveexec_b64 s[8:9], s[2:3]
; %bb.13:                               ;   in Loop: Header=BB9_2 Depth=1
	ds_write_b32 v3, v2
; %bb.14:                               ;   in Loop: Header=BB9_2 Depth=1
	s_or_b64 exec, exec, s[8:9]
	; wave barrier
	s_and_saveexec_b64 s[8:9], s[4:5]
	s_cbranch_execz .LBB9_16
; %bb.15:                               ;   in Loop: Header=BB9_2 Depth=1
	ds_read2_b32 v[4:5], v3 offset1:2
	s_waitcnt lgkmcnt(0)
	v_add_f32_e32 v2, v4, v5
.LBB9_16:                               ;   in Loop: Header=BB9_2 Depth=1
	s_or_b64 exec, exec, s[8:9]
	; wave barrier
	s_and_saveexec_b64 s[8:9], s[4:5]
; %bb.17:                               ;   in Loop: Header=BB9_2 Depth=1
	ds_write_b32 v3, v2
; %bb.18:                               ;   in Loop: Header=BB9_2 Depth=1
	s_or_b64 exec, exec, s[8:9]
	; wave barrier
	s_and_saveexec_b64 s[8:9], s[6:7]
	s_cbranch_execz .LBB9_20
; %bb.19:                               ;   in Loop: Header=BB9_2 Depth=1
	ds_read2_b32 v[4:5], v3 offset1:1
	s_waitcnt lgkmcnt(0)
	v_add_f32_e32 v2, v4, v5
.LBB9_20:                               ;   in Loop: Header=BB9_2 Depth=1
	s_or_b64 exec, exec, s[8:9]
	; wave barrier
	s_and_saveexec_b64 s[8:9], s[6:7]
	s_cbranch_execz .LBB9_1
; %bb.21:                               ;   in Loop: Header=BB9_2 Depth=1
	ds_write_b32 v3, v2
	s_branch .LBB9_1
.LBB9_22:
	v_mov_b32_e32 v3, s11
	v_add_co_u32_e32 v0, vcc, s10, v0
	v_addc_co_u32_e32 v1, vcc, v3, v1, vcc
	global_store_dword v[0:1], v2, off
	s_endpgm
	.section	.rodata,"a",@progbits
	.p2align	6, 0x0
	.amdhsa_kernel _Z18warp_reduce_kernelIfLj31ELj100EENSt9enable_ifIXsr15benchmark_utilsE35device_test_enabled_for_warp_size_vIXT0_EEEvE4typeEPKT_PS3_
		.amdhsa_group_segment_fixed_size 124
		.amdhsa_private_segment_fixed_size 0
		.amdhsa_kernarg_size 272
		.amdhsa_user_sgpr_count 6
		.amdhsa_user_sgpr_private_segment_buffer 1
		.amdhsa_user_sgpr_dispatch_ptr 0
		.amdhsa_user_sgpr_queue_ptr 0
		.amdhsa_user_sgpr_kernarg_segment_ptr 1
		.amdhsa_user_sgpr_dispatch_id 0
		.amdhsa_user_sgpr_flat_scratch_init 0
		.amdhsa_user_sgpr_private_segment_size 0
		.amdhsa_uses_dynamic_stack 0
		.amdhsa_system_sgpr_private_segment_wavefront_offset 0
		.amdhsa_system_sgpr_workgroup_id_x 1
		.amdhsa_system_sgpr_workgroup_id_y 0
		.amdhsa_system_sgpr_workgroup_id_z 0
		.amdhsa_system_sgpr_workgroup_info 0
		.amdhsa_system_vgpr_workitem_id 0
		.amdhsa_next_free_vgpr 6
		.amdhsa_next_free_sgpr 13
		.amdhsa_reserve_vcc 1
		.amdhsa_reserve_flat_scratch 0
		.amdhsa_float_round_mode_32 0
		.amdhsa_float_round_mode_16_64 0
		.amdhsa_float_denorm_mode_32 3
		.amdhsa_float_denorm_mode_16_64 3
		.amdhsa_dx10_clamp 1
		.amdhsa_ieee_mode 1
		.amdhsa_fp16_overflow 0
		.amdhsa_exception_fp_ieee_invalid_op 0
		.amdhsa_exception_fp_denorm_src 0
		.amdhsa_exception_fp_ieee_div_zero 0
		.amdhsa_exception_fp_ieee_overflow 0
		.amdhsa_exception_fp_ieee_underflow 0
		.amdhsa_exception_fp_ieee_inexact 0
		.amdhsa_exception_int_div_zero 0
	.end_amdhsa_kernel
	.section	.text._Z18warp_reduce_kernelIfLj31ELj100EENSt9enable_ifIXsr15benchmark_utilsE35device_test_enabled_for_warp_size_vIXT0_EEEvE4typeEPKT_PS3_,"axG",@progbits,_Z18warp_reduce_kernelIfLj31ELj100EENSt9enable_ifIXsr15benchmark_utilsE35device_test_enabled_for_warp_size_vIXT0_EEEvE4typeEPKT_PS3_,comdat
.Lfunc_end9:
	.size	_Z18warp_reduce_kernelIfLj31ELj100EENSt9enable_ifIXsr15benchmark_utilsE35device_test_enabled_for_warp_size_vIXT0_EEEvE4typeEPKT_PS3_, .Lfunc_end9-_Z18warp_reduce_kernelIfLj31ELj100EENSt9enable_ifIXsr15benchmark_utilsE35device_test_enabled_for_warp_size_vIXT0_EEEvE4typeEPKT_PS3_
                                        ; -- End function
	.set _Z18warp_reduce_kernelIfLj31ELj100EENSt9enable_ifIXsr15benchmark_utilsE35device_test_enabled_for_warp_size_vIXT0_EEEvE4typeEPKT_PS3_.num_vgpr, 6
	.set _Z18warp_reduce_kernelIfLj31ELj100EENSt9enable_ifIXsr15benchmark_utilsE35device_test_enabled_for_warp_size_vIXT0_EEEvE4typeEPKT_PS3_.num_agpr, 0
	.set _Z18warp_reduce_kernelIfLj31ELj100EENSt9enable_ifIXsr15benchmark_utilsE35device_test_enabled_for_warp_size_vIXT0_EEEvE4typeEPKT_PS3_.numbered_sgpr, 13
	.set _Z18warp_reduce_kernelIfLj31ELj100EENSt9enable_ifIXsr15benchmark_utilsE35device_test_enabled_for_warp_size_vIXT0_EEEvE4typeEPKT_PS3_.num_named_barrier, 0
	.set _Z18warp_reduce_kernelIfLj31ELj100EENSt9enable_ifIXsr15benchmark_utilsE35device_test_enabled_for_warp_size_vIXT0_EEEvE4typeEPKT_PS3_.private_seg_size, 0
	.set _Z18warp_reduce_kernelIfLj31ELj100EENSt9enable_ifIXsr15benchmark_utilsE35device_test_enabled_for_warp_size_vIXT0_EEEvE4typeEPKT_PS3_.uses_vcc, 1
	.set _Z18warp_reduce_kernelIfLj31ELj100EENSt9enable_ifIXsr15benchmark_utilsE35device_test_enabled_for_warp_size_vIXT0_EEEvE4typeEPKT_PS3_.uses_flat_scratch, 0
	.set _Z18warp_reduce_kernelIfLj31ELj100EENSt9enable_ifIXsr15benchmark_utilsE35device_test_enabled_for_warp_size_vIXT0_EEEvE4typeEPKT_PS3_.has_dyn_sized_stack, 0
	.set _Z18warp_reduce_kernelIfLj31ELj100EENSt9enable_ifIXsr15benchmark_utilsE35device_test_enabled_for_warp_size_vIXT0_EEEvE4typeEPKT_PS3_.has_recursion, 0
	.set _Z18warp_reduce_kernelIfLj31ELj100EENSt9enable_ifIXsr15benchmark_utilsE35device_test_enabled_for_warp_size_vIXT0_EEEvE4typeEPKT_PS3_.has_indirect_call, 0
	.section	.AMDGPU.csdata,"",@progbits
; Kernel info:
; codeLenInByte = 432
; TotalNumSgprs: 17
; NumVgprs: 6
; ScratchSize: 0
; MemoryBound: 0
; FloatMode: 240
; IeeeMode: 1
; LDSByteSize: 124 bytes/workgroup (compile time only)
; SGPRBlocks: 2
; VGPRBlocks: 1
; NumSGPRsForWavesPerEU: 17
; NumVGPRsForWavesPerEU: 6
; Occupancy: 10
; WaveLimiterHint : 0
; COMPUTE_PGM_RSRC2:SCRATCH_EN: 0
; COMPUTE_PGM_RSRC2:USER_SGPR: 6
; COMPUTE_PGM_RSRC2:TRAP_HANDLER: 0
; COMPUTE_PGM_RSRC2:TGID_X_EN: 1
; COMPUTE_PGM_RSRC2:TGID_Y_EN: 0
; COMPUTE_PGM_RSRC2:TGID_Z_EN: 0
; COMPUTE_PGM_RSRC2:TIDIG_COMP_CNT: 0
	.section	.text._Z18warp_reduce_kernelIfLj32ELj100EENSt9enable_ifIXsr15benchmark_utilsE35device_test_enabled_for_warp_size_vIXT0_EEEvE4typeEPKT_PS3_,"axG",@progbits,_Z18warp_reduce_kernelIfLj32ELj100EENSt9enable_ifIXsr15benchmark_utilsE35device_test_enabled_for_warp_size_vIXT0_EEEvE4typeEPKT_PS3_,comdat
	.protected	_Z18warp_reduce_kernelIfLj32ELj100EENSt9enable_ifIXsr15benchmark_utilsE35device_test_enabled_for_warp_size_vIXT0_EEEvE4typeEPKT_PS3_ ; -- Begin function _Z18warp_reduce_kernelIfLj32ELj100EENSt9enable_ifIXsr15benchmark_utilsE35device_test_enabled_for_warp_size_vIXT0_EEEvE4typeEPKT_PS3_
	.globl	_Z18warp_reduce_kernelIfLj32ELj100EENSt9enable_ifIXsr15benchmark_utilsE35device_test_enabled_for_warp_size_vIXT0_EEEvE4typeEPKT_PS3_
	.p2align	8
	.type	_Z18warp_reduce_kernelIfLj32ELj100EENSt9enable_ifIXsr15benchmark_utilsE35device_test_enabled_for_warp_size_vIXT0_EEEvE4typeEPKT_PS3_,@function
_Z18warp_reduce_kernelIfLj32ELj100EENSt9enable_ifIXsr15benchmark_utilsE35device_test_enabled_for_warp_size_vIXT0_EEEvE4typeEPKT_PS3_: ; @_Z18warp_reduce_kernelIfLj32ELj100EENSt9enable_ifIXsr15benchmark_utilsE35device_test_enabled_for_warp_size_vIXT0_EEEvE4typeEPKT_PS3_
; %bb.0:
	s_load_dword s7, s[4:5], 0x1c
	s_load_dwordx4 s[0:3], s[4:5], 0x0
	v_mov_b32_e32 v1, 0
	s_waitcnt lgkmcnt(0)
	s_and_b32 s4, s7, 0xffff
	s_mul_i32 s6, s6, s4
	v_add_u32_e32 v0, s6, v0
	v_lshlrev_b64 v[0:1], 2, v[0:1]
	v_mov_b32_e32 v3, s1
	v_add_co_u32_e32 v2, vcc, s0, v0
	v_addc_co_u32_e32 v3, vcc, v3, v1, vcc
	global_load_dword v2, v[2:3], off
	v_mbcnt_lo_u32_b32 v3, -1, 0
	v_mbcnt_hi_u32_b32 v7, -1, v3
	v_and_b32_e32 v6, 31, v7
	v_cmp_ne_u32_e32 vcc, 31, v6
	v_addc_co_u32_e32 v3, vcc, 0, v7, vcc
	v_cmp_gt_u32_e32 vcc, 30, v6
	v_cndmask_b32_e64 v4, 0, 2, vcc
	v_cmp_gt_u32_e32 vcc, 28, v6
	v_cndmask_b32_e64 v5, 0, 4, vcc
	;; [unrolled: 2-line block ×3, first 2 shown]
	v_lshlrev_b32_e32 v3, 2, v3
	v_add_lshl_u32 v4, v4, v7, 2
	v_add_lshl_u32 v5, v5, v7, 2
	;; [unrolled: 1-line block ×3, first 2 shown]
	v_lshl_or_b32 v7, v7, 2, 64
	s_movk_i32 s0, 0x64
.LBB10_1:                               ; =>This Inner Loop Header: Depth=1
	s_waitcnt vmcnt(0)
	ds_bpermute_b32 v8, v3, v2
	s_add_i32 s0, s0, -1
	s_cmp_eq_u32 s0, 0
	s_waitcnt lgkmcnt(0)
	v_add_f32_e32 v2, v2, v8
	ds_bpermute_b32 v8, v4, v2
	s_waitcnt lgkmcnt(0)
	v_add_f32_e32 v2, v2, v8
	ds_bpermute_b32 v8, v5, v2
	;; [unrolled: 3-line block ×4, first 2 shown]
	s_waitcnt lgkmcnt(0)
	v_add_f32_e32 v2, v2, v8
	s_cbranch_scc0 .LBB10_1
; %bb.2:
	v_mov_b32_e32 v3, s3
	v_add_co_u32_e32 v0, vcc, s2, v0
	v_addc_co_u32_e32 v1, vcc, v3, v1, vcc
	global_store_dword v[0:1], v2, off
	s_endpgm
	.section	.rodata,"a",@progbits
	.p2align	6, 0x0
	.amdhsa_kernel _Z18warp_reduce_kernelIfLj32ELj100EENSt9enable_ifIXsr15benchmark_utilsE35device_test_enabled_for_warp_size_vIXT0_EEEvE4typeEPKT_PS3_
		.amdhsa_group_segment_fixed_size 0
		.amdhsa_private_segment_fixed_size 0
		.amdhsa_kernarg_size 272
		.amdhsa_user_sgpr_count 6
		.amdhsa_user_sgpr_private_segment_buffer 1
		.amdhsa_user_sgpr_dispatch_ptr 0
		.amdhsa_user_sgpr_queue_ptr 0
		.amdhsa_user_sgpr_kernarg_segment_ptr 1
		.amdhsa_user_sgpr_dispatch_id 0
		.amdhsa_user_sgpr_flat_scratch_init 0
		.amdhsa_user_sgpr_private_segment_size 0
		.amdhsa_uses_dynamic_stack 0
		.amdhsa_system_sgpr_private_segment_wavefront_offset 0
		.amdhsa_system_sgpr_workgroup_id_x 1
		.amdhsa_system_sgpr_workgroup_id_y 0
		.amdhsa_system_sgpr_workgroup_id_z 0
		.amdhsa_system_sgpr_workgroup_info 0
		.amdhsa_system_vgpr_workitem_id 0
		.amdhsa_next_free_vgpr 9
		.amdhsa_next_free_sgpr 8
		.amdhsa_reserve_vcc 1
		.amdhsa_reserve_flat_scratch 0
		.amdhsa_float_round_mode_32 0
		.amdhsa_float_round_mode_16_64 0
		.amdhsa_float_denorm_mode_32 3
		.amdhsa_float_denorm_mode_16_64 3
		.amdhsa_dx10_clamp 1
		.amdhsa_ieee_mode 1
		.amdhsa_fp16_overflow 0
		.amdhsa_exception_fp_ieee_invalid_op 0
		.amdhsa_exception_fp_denorm_src 0
		.amdhsa_exception_fp_ieee_div_zero 0
		.amdhsa_exception_fp_ieee_overflow 0
		.amdhsa_exception_fp_ieee_underflow 0
		.amdhsa_exception_fp_ieee_inexact 0
		.amdhsa_exception_int_div_zero 0
	.end_amdhsa_kernel
	.section	.text._Z18warp_reduce_kernelIfLj32ELj100EENSt9enable_ifIXsr15benchmark_utilsE35device_test_enabled_for_warp_size_vIXT0_EEEvE4typeEPKT_PS3_,"axG",@progbits,_Z18warp_reduce_kernelIfLj32ELj100EENSt9enable_ifIXsr15benchmark_utilsE35device_test_enabled_for_warp_size_vIXT0_EEEvE4typeEPKT_PS3_,comdat
.Lfunc_end10:
	.size	_Z18warp_reduce_kernelIfLj32ELj100EENSt9enable_ifIXsr15benchmark_utilsE35device_test_enabled_for_warp_size_vIXT0_EEEvE4typeEPKT_PS3_, .Lfunc_end10-_Z18warp_reduce_kernelIfLj32ELj100EENSt9enable_ifIXsr15benchmark_utilsE35device_test_enabled_for_warp_size_vIXT0_EEEvE4typeEPKT_PS3_
                                        ; -- End function
	.set _Z18warp_reduce_kernelIfLj32ELj100EENSt9enable_ifIXsr15benchmark_utilsE35device_test_enabled_for_warp_size_vIXT0_EEEvE4typeEPKT_PS3_.num_vgpr, 9
	.set _Z18warp_reduce_kernelIfLj32ELj100EENSt9enable_ifIXsr15benchmark_utilsE35device_test_enabled_for_warp_size_vIXT0_EEEvE4typeEPKT_PS3_.num_agpr, 0
	.set _Z18warp_reduce_kernelIfLj32ELj100EENSt9enable_ifIXsr15benchmark_utilsE35device_test_enabled_for_warp_size_vIXT0_EEEvE4typeEPKT_PS3_.numbered_sgpr, 8
	.set _Z18warp_reduce_kernelIfLj32ELj100EENSt9enable_ifIXsr15benchmark_utilsE35device_test_enabled_for_warp_size_vIXT0_EEEvE4typeEPKT_PS3_.num_named_barrier, 0
	.set _Z18warp_reduce_kernelIfLj32ELj100EENSt9enable_ifIXsr15benchmark_utilsE35device_test_enabled_for_warp_size_vIXT0_EEEvE4typeEPKT_PS3_.private_seg_size, 0
	.set _Z18warp_reduce_kernelIfLj32ELj100EENSt9enable_ifIXsr15benchmark_utilsE35device_test_enabled_for_warp_size_vIXT0_EEEvE4typeEPKT_PS3_.uses_vcc, 1
	.set _Z18warp_reduce_kernelIfLj32ELj100EENSt9enable_ifIXsr15benchmark_utilsE35device_test_enabled_for_warp_size_vIXT0_EEEvE4typeEPKT_PS3_.uses_flat_scratch, 0
	.set _Z18warp_reduce_kernelIfLj32ELj100EENSt9enable_ifIXsr15benchmark_utilsE35device_test_enabled_for_warp_size_vIXT0_EEEvE4typeEPKT_PS3_.has_dyn_sized_stack, 0
	.set _Z18warp_reduce_kernelIfLj32ELj100EENSt9enable_ifIXsr15benchmark_utilsE35device_test_enabled_for_warp_size_vIXT0_EEEvE4typeEPKT_PS3_.has_recursion, 0
	.set _Z18warp_reduce_kernelIfLj32ELj100EENSt9enable_ifIXsr15benchmark_utilsE35device_test_enabled_for_warp_size_vIXT0_EEEvE4typeEPKT_PS3_.has_indirect_call, 0
	.section	.AMDGPU.csdata,"",@progbits
; Kernel info:
; codeLenInByte = 292
; TotalNumSgprs: 12
; NumVgprs: 9
; ScratchSize: 0
; MemoryBound: 0
; FloatMode: 240
; IeeeMode: 1
; LDSByteSize: 0 bytes/workgroup (compile time only)
; SGPRBlocks: 1
; VGPRBlocks: 2
; NumSGPRsForWavesPerEU: 12
; NumVGPRsForWavesPerEU: 9
; Occupancy: 10
; WaveLimiterHint : 0
; COMPUTE_PGM_RSRC2:SCRATCH_EN: 0
; COMPUTE_PGM_RSRC2:USER_SGPR: 6
; COMPUTE_PGM_RSRC2:TRAP_HANDLER: 0
; COMPUTE_PGM_RSRC2:TGID_X_EN: 1
; COMPUTE_PGM_RSRC2:TGID_Y_EN: 0
; COMPUTE_PGM_RSRC2:TGID_Z_EN: 0
; COMPUTE_PGM_RSRC2:TIDIG_COMP_CNT: 0
	.section	.text._Z18warp_reduce_kernelIfLj37ELj100EENSt9enable_ifIXsr15benchmark_utilsE35device_test_enabled_for_warp_size_vIXT0_EEEvE4typeEPKT_PS3_,"axG",@progbits,_Z18warp_reduce_kernelIfLj37ELj100EENSt9enable_ifIXsr15benchmark_utilsE35device_test_enabled_for_warp_size_vIXT0_EEEvE4typeEPKT_PS3_,comdat
	.protected	_Z18warp_reduce_kernelIfLj37ELj100EENSt9enable_ifIXsr15benchmark_utilsE35device_test_enabled_for_warp_size_vIXT0_EEEvE4typeEPKT_PS3_ ; -- Begin function _Z18warp_reduce_kernelIfLj37ELj100EENSt9enable_ifIXsr15benchmark_utilsE35device_test_enabled_for_warp_size_vIXT0_EEEvE4typeEPKT_PS3_
	.globl	_Z18warp_reduce_kernelIfLj37ELj100EENSt9enable_ifIXsr15benchmark_utilsE35device_test_enabled_for_warp_size_vIXT0_EEEvE4typeEPKT_PS3_
	.p2align	8
	.type	_Z18warp_reduce_kernelIfLj37ELj100EENSt9enable_ifIXsr15benchmark_utilsE35device_test_enabled_for_warp_size_vIXT0_EEEvE4typeEPKT_PS3_,@function
_Z18warp_reduce_kernelIfLj37ELj100EENSt9enable_ifIXsr15benchmark_utilsE35device_test_enabled_for_warp_size_vIXT0_EEEvE4typeEPKT_PS3_: ; @_Z18warp_reduce_kernelIfLj37ELj100EENSt9enable_ifIXsr15benchmark_utilsE35device_test_enabled_for_warp_size_vIXT0_EEEvE4typeEPKT_PS3_
; %bb.0:
	s_load_dword s0, s[4:5], 0x1c
	s_load_dwordx4 s[8:11], s[4:5], 0x0
	v_mov_b32_e32 v1, 0
	s_movk_i32 s14, 0x64
	s_waitcnt lgkmcnt(0)
	s_and_b32 s0, s0, 0xffff
	s_mul_i32 s6, s6, s0
	v_add_u32_e32 v0, s6, v0
	v_lshlrev_b64 v[0:1], 2, v[0:1]
	v_mov_b32_e32 v3, s9
	v_add_co_u32_e32 v2, vcc, s8, v0
	v_addc_co_u32_e32 v3, vcc, v3, v1, vcc
	global_load_dword v2, v[2:3], off
	v_mbcnt_lo_u32_b32 v3, -1, 0
	v_mbcnt_hi_u32_b32 v3, -1, v3
	s_mov_b32 s0, 0x6eb3e46
	v_mul_hi_u32 v4, v3, s0
	v_mul_u32_u24_e32 v4, 37, v4
	v_sub_u32_e32 v4, v3, v4
	v_lshlrev_b32_e32 v3, 2, v4
	v_cmp_gt_u32_e32 vcc, 5, v4
	v_cmp_gt_u32_e64 s[0:1], 16, v4
	v_cmp_gt_u32_e64 s[2:3], 8, v4
	;; [unrolled: 1-line block ×4, first 2 shown]
	v_cmp_eq_u32_e64 s[8:9], 0, v4
	s_branch .LBB11_2
.LBB11_1:                               ;   in Loop: Header=BB11_2 Depth=1
	s_or_b64 exec, exec, s[12:13]
	s_add_i32 s14, s14, -1
	s_cmp_eq_u32 s14, 0
	; wave barrier
	s_cbranch_scc1 .LBB11_26
.LBB11_2:                               ; =>This Inner Loop Header: Depth=1
	s_waitcnt vmcnt(0)
	ds_write_b32 v3, v2
	; wave barrier
	s_and_saveexec_b64 s[12:13], vcc
	s_cbranch_execz .LBB11_4
; %bb.3:                                ;   in Loop: Header=BB11_2 Depth=1
	ds_read2_b32 v[4:5], v3 offset1:32
	s_waitcnt lgkmcnt(0)
	v_add_f32_e32 v2, v4, v5
.LBB11_4:                               ;   in Loop: Header=BB11_2 Depth=1
	s_or_b64 exec, exec, s[12:13]
	; wave barrier
	s_and_saveexec_b64 s[12:13], vcc
; %bb.5:                                ;   in Loop: Header=BB11_2 Depth=1
	ds_write_b32 v3, v2
; %bb.6:                                ;   in Loop: Header=BB11_2 Depth=1
	s_or_b64 exec, exec, s[12:13]
	; wave barrier
	s_and_saveexec_b64 s[12:13], s[0:1]
	s_cbranch_execz .LBB11_8
; %bb.7:                                ;   in Loop: Header=BB11_2 Depth=1
	ds_read2_b32 v[4:5], v3 offset1:16
	s_waitcnt lgkmcnt(0)
	v_add_f32_e32 v2, v4, v5
.LBB11_8:                               ;   in Loop: Header=BB11_2 Depth=1
	s_or_b64 exec, exec, s[12:13]
	; wave barrier
	s_and_saveexec_b64 s[12:13], s[0:1]
; %bb.9:                                ;   in Loop: Header=BB11_2 Depth=1
	ds_write_b32 v3, v2
; %bb.10:                               ;   in Loop: Header=BB11_2 Depth=1
	s_or_b64 exec, exec, s[12:13]
	; wave barrier
	s_and_saveexec_b64 s[12:13], s[2:3]
	s_cbranch_execz .LBB11_12
; %bb.11:                               ;   in Loop: Header=BB11_2 Depth=1
	ds_read2_b32 v[4:5], v3 offset1:8
	s_waitcnt lgkmcnt(0)
	v_add_f32_e32 v2, v4, v5
.LBB11_12:                              ;   in Loop: Header=BB11_2 Depth=1
	s_or_b64 exec, exec, s[12:13]
	; wave barrier
	s_and_saveexec_b64 s[12:13], s[2:3]
; %bb.13:                               ;   in Loop: Header=BB11_2 Depth=1
	ds_write_b32 v3, v2
; %bb.14:                               ;   in Loop: Header=BB11_2 Depth=1
	s_or_b64 exec, exec, s[12:13]
	; wave barrier
	s_and_saveexec_b64 s[12:13], s[4:5]
	s_cbranch_execz .LBB11_16
; %bb.15:                               ;   in Loop: Header=BB11_2 Depth=1
	ds_read2_b32 v[4:5], v3 offset1:4
	s_waitcnt lgkmcnt(0)
	v_add_f32_e32 v2, v4, v5
.LBB11_16:                              ;   in Loop: Header=BB11_2 Depth=1
	s_or_b64 exec, exec, s[12:13]
	; wave barrier
	s_and_saveexec_b64 s[12:13], s[4:5]
; %bb.17:                               ;   in Loop: Header=BB11_2 Depth=1
	;; [unrolled: 15-line block ×3, first 2 shown]
	ds_write_b32 v3, v2
; %bb.22:                               ;   in Loop: Header=BB11_2 Depth=1
	s_or_b64 exec, exec, s[12:13]
	; wave barrier
	s_and_saveexec_b64 s[12:13], s[8:9]
	s_cbranch_execz .LBB11_24
; %bb.23:                               ;   in Loop: Header=BB11_2 Depth=1
	ds_read2_b32 v[4:5], v3 offset1:1
	s_waitcnt lgkmcnt(0)
	v_add_f32_e32 v2, v4, v5
.LBB11_24:                              ;   in Loop: Header=BB11_2 Depth=1
	s_or_b64 exec, exec, s[12:13]
	; wave barrier
	s_and_saveexec_b64 s[12:13], s[8:9]
	s_cbranch_execz .LBB11_1
; %bb.25:                               ;   in Loop: Header=BB11_2 Depth=1
	ds_write_b32 v3, v2
	s_branch .LBB11_1
.LBB11_26:
	v_mov_b32_e32 v3, s11
	v_add_co_u32_e32 v0, vcc, s10, v0
	v_addc_co_u32_e32 v1, vcc, v3, v1, vcc
	global_store_dword v[0:1], v2, off
	s_endpgm
	.section	.rodata,"a",@progbits
	.p2align	6, 0x0
	.amdhsa_kernel _Z18warp_reduce_kernelIfLj37ELj100EENSt9enable_ifIXsr15benchmark_utilsE35device_test_enabled_for_warp_size_vIXT0_EEEvE4typeEPKT_PS3_
		.amdhsa_group_segment_fixed_size 148
		.amdhsa_private_segment_fixed_size 0
		.amdhsa_kernarg_size 272
		.amdhsa_user_sgpr_count 6
		.amdhsa_user_sgpr_private_segment_buffer 1
		.amdhsa_user_sgpr_dispatch_ptr 0
		.amdhsa_user_sgpr_queue_ptr 0
		.amdhsa_user_sgpr_kernarg_segment_ptr 1
		.amdhsa_user_sgpr_dispatch_id 0
		.amdhsa_user_sgpr_flat_scratch_init 0
		.amdhsa_user_sgpr_private_segment_size 0
		.amdhsa_uses_dynamic_stack 0
		.amdhsa_system_sgpr_private_segment_wavefront_offset 0
		.amdhsa_system_sgpr_workgroup_id_x 1
		.amdhsa_system_sgpr_workgroup_id_y 0
		.amdhsa_system_sgpr_workgroup_id_z 0
		.amdhsa_system_sgpr_workgroup_info 0
		.amdhsa_system_vgpr_workitem_id 0
		.amdhsa_next_free_vgpr 6
		.amdhsa_next_free_sgpr 15
		.amdhsa_reserve_vcc 1
		.amdhsa_reserve_flat_scratch 0
		.amdhsa_float_round_mode_32 0
		.amdhsa_float_round_mode_16_64 0
		.amdhsa_float_denorm_mode_32 3
		.amdhsa_float_denorm_mode_16_64 3
		.amdhsa_dx10_clamp 1
		.amdhsa_ieee_mode 1
		.amdhsa_fp16_overflow 0
		.amdhsa_exception_fp_ieee_invalid_op 0
		.amdhsa_exception_fp_denorm_src 0
		.amdhsa_exception_fp_ieee_div_zero 0
		.amdhsa_exception_fp_ieee_overflow 0
		.amdhsa_exception_fp_ieee_underflow 0
		.amdhsa_exception_fp_ieee_inexact 0
		.amdhsa_exception_int_div_zero 0
	.end_amdhsa_kernel
	.section	.text._Z18warp_reduce_kernelIfLj37ELj100EENSt9enable_ifIXsr15benchmark_utilsE35device_test_enabled_for_warp_size_vIXT0_EEEvE4typeEPKT_PS3_,"axG",@progbits,_Z18warp_reduce_kernelIfLj37ELj100EENSt9enable_ifIXsr15benchmark_utilsE35device_test_enabled_for_warp_size_vIXT0_EEEvE4typeEPKT_PS3_,comdat
.Lfunc_end11:
	.size	_Z18warp_reduce_kernelIfLj37ELj100EENSt9enable_ifIXsr15benchmark_utilsE35device_test_enabled_for_warp_size_vIXT0_EEEvE4typeEPKT_PS3_, .Lfunc_end11-_Z18warp_reduce_kernelIfLj37ELj100EENSt9enable_ifIXsr15benchmark_utilsE35device_test_enabled_for_warp_size_vIXT0_EEEvE4typeEPKT_PS3_
                                        ; -- End function
	.set _Z18warp_reduce_kernelIfLj37ELj100EENSt9enable_ifIXsr15benchmark_utilsE35device_test_enabled_for_warp_size_vIXT0_EEEvE4typeEPKT_PS3_.num_vgpr, 6
	.set _Z18warp_reduce_kernelIfLj37ELj100EENSt9enable_ifIXsr15benchmark_utilsE35device_test_enabled_for_warp_size_vIXT0_EEEvE4typeEPKT_PS3_.num_agpr, 0
	.set _Z18warp_reduce_kernelIfLj37ELj100EENSt9enable_ifIXsr15benchmark_utilsE35device_test_enabled_for_warp_size_vIXT0_EEEvE4typeEPKT_PS3_.numbered_sgpr, 15
	.set _Z18warp_reduce_kernelIfLj37ELj100EENSt9enable_ifIXsr15benchmark_utilsE35device_test_enabled_for_warp_size_vIXT0_EEEvE4typeEPKT_PS3_.num_named_barrier, 0
	.set _Z18warp_reduce_kernelIfLj37ELj100EENSt9enable_ifIXsr15benchmark_utilsE35device_test_enabled_for_warp_size_vIXT0_EEEvE4typeEPKT_PS3_.private_seg_size, 0
	.set _Z18warp_reduce_kernelIfLj37ELj100EENSt9enable_ifIXsr15benchmark_utilsE35device_test_enabled_for_warp_size_vIXT0_EEEvE4typeEPKT_PS3_.uses_vcc, 1
	.set _Z18warp_reduce_kernelIfLj37ELj100EENSt9enable_ifIXsr15benchmark_utilsE35device_test_enabled_for_warp_size_vIXT0_EEEvE4typeEPKT_PS3_.uses_flat_scratch, 0
	.set _Z18warp_reduce_kernelIfLj37ELj100EENSt9enable_ifIXsr15benchmark_utilsE35device_test_enabled_for_warp_size_vIXT0_EEEvE4typeEPKT_PS3_.has_dyn_sized_stack, 0
	.set _Z18warp_reduce_kernelIfLj37ELj100EENSt9enable_ifIXsr15benchmark_utilsE35device_test_enabled_for_warp_size_vIXT0_EEEvE4typeEPKT_PS3_.has_recursion, 0
	.set _Z18warp_reduce_kernelIfLj37ELj100EENSt9enable_ifIXsr15benchmark_utilsE35device_test_enabled_for_warp_size_vIXT0_EEEvE4typeEPKT_PS3_.has_indirect_call, 0
	.section	.AMDGPU.csdata,"",@progbits
; Kernel info:
; codeLenInByte = 484
; TotalNumSgprs: 19
; NumVgprs: 6
; ScratchSize: 0
; MemoryBound: 0
; FloatMode: 240
; IeeeMode: 1
; LDSByteSize: 148 bytes/workgroup (compile time only)
; SGPRBlocks: 2
; VGPRBlocks: 1
; NumSGPRsForWavesPerEU: 19
; NumVGPRsForWavesPerEU: 6
; Occupancy: 10
; WaveLimiterHint : 0
; COMPUTE_PGM_RSRC2:SCRATCH_EN: 0
; COMPUTE_PGM_RSRC2:USER_SGPR: 6
; COMPUTE_PGM_RSRC2:TRAP_HANDLER: 0
; COMPUTE_PGM_RSRC2:TGID_X_EN: 1
; COMPUTE_PGM_RSRC2:TGID_Y_EN: 0
; COMPUTE_PGM_RSRC2:TGID_Z_EN: 0
; COMPUTE_PGM_RSRC2:TIDIG_COMP_CNT: 0
	.section	.text._Z18warp_reduce_kernelIfLj61ELj100EENSt9enable_ifIXsr15benchmark_utilsE35device_test_enabled_for_warp_size_vIXT0_EEEvE4typeEPKT_PS3_,"axG",@progbits,_Z18warp_reduce_kernelIfLj61ELj100EENSt9enable_ifIXsr15benchmark_utilsE35device_test_enabled_for_warp_size_vIXT0_EEEvE4typeEPKT_PS3_,comdat
	.protected	_Z18warp_reduce_kernelIfLj61ELj100EENSt9enable_ifIXsr15benchmark_utilsE35device_test_enabled_for_warp_size_vIXT0_EEEvE4typeEPKT_PS3_ ; -- Begin function _Z18warp_reduce_kernelIfLj61ELj100EENSt9enable_ifIXsr15benchmark_utilsE35device_test_enabled_for_warp_size_vIXT0_EEEvE4typeEPKT_PS3_
	.globl	_Z18warp_reduce_kernelIfLj61ELj100EENSt9enable_ifIXsr15benchmark_utilsE35device_test_enabled_for_warp_size_vIXT0_EEEvE4typeEPKT_PS3_
	.p2align	8
	.type	_Z18warp_reduce_kernelIfLj61ELj100EENSt9enable_ifIXsr15benchmark_utilsE35device_test_enabled_for_warp_size_vIXT0_EEEvE4typeEPKT_PS3_,@function
_Z18warp_reduce_kernelIfLj61ELj100EENSt9enable_ifIXsr15benchmark_utilsE35device_test_enabled_for_warp_size_vIXT0_EEEvE4typeEPKT_PS3_: ; @_Z18warp_reduce_kernelIfLj61ELj100EENSt9enable_ifIXsr15benchmark_utilsE35device_test_enabled_for_warp_size_vIXT0_EEEvE4typeEPKT_PS3_
; %bb.0:
	s_load_dword s0, s[4:5], 0x1c
	s_load_dwordx4 s[8:11], s[4:5], 0x0
	v_mov_b32_e32 v1, 0
	s_movk_i32 s14, 0x64
	s_waitcnt lgkmcnt(0)
	s_and_b32 s0, s0, 0xffff
	s_mul_i32 s6, s6, s0
	v_add_u32_e32 v0, s6, v0
	v_lshlrev_b64 v[0:1], 2, v[0:1]
	v_mov_b32_e32 v3, s9
	v_add_co_u32_e32 v2, vcc, s8, v0
	v_addc_co_u32_e32 v3, vcc, v3, v1, vcc
	global_load_dword v2, v[2:3], off
	v_mbcnt_lo_u32_b32 v3, -1, 0
	v_mbcnt_hi_u32_b32 v3, -1, v3
	s_mov_b32 s0, 0x4325c54
	v_mul_hi_u32 v4, v3, s0
	v_mul_u32_u24_e32 v4, 61, v4
	v_sub_u32_e32 v4, v3, v4
	v_lshlrev_b32_e32 v3, 2, v4
	v_cmp_gt_u32_e32 vcc, 29, v4
	v_cmp_gt_u32_e64 s[0:1], 16, v4
	v_cmp_gt_u32_e64 s[2:3], 8, v4
	;; [unrolled: 1-line block ×4, first 2 shown]
	v_cmp_eq_u32_e64 s[8:9], 0, v4
	s_branch .LBB12_2
.LBB12_1:                               ;   in Loop: Header=BB12_2 Depth=1
	s_or_b64 exec, exec, s[12:13]
	s_add_i32 s14, s14, -1
	s_cmp_eq_u32 s14, 0
	; wave barrier
	s_cbranch_scc1 .LBB12_26
.LBB12_2:                               ; =>This Inner Loop Header: Depth=1
	s_waitcnt vmcnt(0)
	ds_write_b32 v3, v2
	; wave barrier
	s_and_saveexec_b64 s[12:13], vcc
	s_cbranch_execz .LBB12_4
; %bb.3:                                ;   in Loop: Header=BB12_2 Depth=1
	ds_read2_b32 v[4:5], v3 offset1:32
	s_waitcnt lgkmcnt(0)
	v_add_f32_e32 v2, v4, v5
.LBB12_4:                               ;   in Loop: Header=BB12_2 Depth=1
	s_or_b64 exec, exec, s[12:13]
	; wave barrier
	s_and_saveexec_b64 s[12:13], vcc
; %bb.5:                                ;   in Loop: Header=BB12_2 Depth=1
	ds_write_b32 v3, v2
; %bb.6:                                ;   in Loop: Header=BB12_2 Depth=1
	s_or_b64 exec, exec, s[12:13]
	; wave barrier
	s_and_saveexec_b64 s[12:13], s[0:1]
	s_cbranch_execz .LBB12_8
; %bb.7:                                ;   in Loop: Header=BB12_2 Depth=1
	ds_read2_b32 v[4:5], v3 offset1:16
	s_waitcnt lgkmcnt(0)
	v_add_f32_e32 v2, v4, v5
.LBB12_8:                               ;   in Loop: Header=BB12_2 Depth=1
	s_or_b64 exec, exec, s[12:13]
	; wave barrier
	s_and_saveexec_b64 s[12:13], s[0:1]
; %bb.9:                                ;   in Loop: Header=BB12_2 Depth=1
	ds_write_b32 v3, v2
; %bb.10:                               ;   in Loop: Header=BB12_2 Depth=1
	s_or_b64 exec, exec, s[12:13]
	; wave barrier
	s_and_saveexec_b64 s[12:13], s[2:3]
	s_cbranch_execz .LBB12_12
; %bb.11:                               ;   in Loop: Header=BB12_2 Depth=1
	ds_read2_b32 v[4:5], v3 offset1:8
	s_waitcnt lgkmcnt(0)
	v_add_f32_e32 v2, v4, v5
.LBB12_12:                              ;   in Loop: Header=BB12_2 Depth=1
	s_or_b64 exec, exec, s[12:13]
	; wave barrier
	s_and_saveexec_b64 s[12:13], s[2:3]
; %bb.13:                               ;   in Loop: Header=BB12_2 Depth=1
	ds_write_b32 v3, v2
; %bb.14:                               ;   in Loop: Header=BB12_2 Depth=1
	s_or_b64 exec, exec, s[12:13]
	; wave barrier
	s_and_saveexec_b64 s[12:13], s[4:5]
	s_cbranch_execz .LBB12_16
; %bb.15:                               ;   in Loop: Header=BB12_2 Depth=1
	ds_read2_b32 v[4:5], v3 offset1:4
	s_waitcnt lgkmcnt(0)
	v_add_f32_e32 v2, v4, v5
.LBB12_16:                              ;   in Loop: Header=BB12_2 Depth=1
	s_or_b64 exec, exec, s[12:13]
	; wave barrier
	s_and_saveexec_b64 s[12:13], s[4:5]
; %bb.17:                               ;   in Loop: Header=BB12_2 Depth=1
	;; [unrolled: 15-line block ×3, first 2 shown]
	ds_write_b32 v3, v2
; %bb.22:                               ;   in Loop: Header=BB12_2 Depth=1
	s_or_b64 exec, exec, s[12:13]
	; wave barrier
	s_and_saveexec_b64 s[12:13], s[8:9]
	s_cbranch_execz .LBB12_24
; %bb.23:                               ;   in Loop: Header=BB12_2 Depth=1
	ds_read2_b32 v[4:5], v3 offset1:1
	s_waitcnt lgkmcnt(0)
	v_add_f32_e32 v2, v4, v5
.LBB12_24:                              ;   in Loop: Header=BB12_2 Depth=1
	s_or_b64 exec, exec, s[12:13]
	; wave barrier
	s_and_saveexec_b64 s[12:13], s[8:9]
	s_cbranch_execz .LBB12_1
; %bb.25:                               ;   in Loop: Header=BB12_2 Depth=1
	ds_write_b32 v3, v2
	s_branch .LBB12_1
.LBB12_26:
	v_mov_b32_e32 v3, s11
	v_add_co_u32_e32 v0, vcc, s10, v0
	v_addc_co_u32_e32 v1, vcc, v3, v1, vcc
	global_store_dword v[0:1], v2, off
	s_endpgm
	.section	.rodata,"a",@progbits
	.p2align	6, 0x0
	.amdhsa_kernel _Z18warp_reduce_kernelIfLj61ELj100EENSt9enable_ifIXsr15benchmark_utilsE35device_test_enabled_for_warp_size_vIXT0_EEEvE4typeEPKT_PS3_
		.amdhsa_group_segment_fixed_size 244
		.amdhsa_private_segment_fixed_size 0
		.amdhsa_kernarg_size 272
		.amdhsa_user_sgpr_count 6
		.amdhsa_user_sgpr_private_segment_buffer 1
		.amdhsa_user_sgpr_dispatch_ptr 0
		.amdhsa_user_sgpr_queue_ptr 0
		.amdhsa_user_sgpr_kernarg_segment_ptr 1
		.amdhsa_user_sgpr_dispatch_id 0
		.amdhsa_user_sgpr_flat_scratch_init 0
		.amdhsa_user_sgpr_private_segment_size 0
		.amdhsa_uses_dynamic_stack 0
		.amdhsa_system_sgpr_private_segment_wavefront_offset 0
		.amdhsa_system_sgpr_workgroup_id_x 1
		.amdhsa_system_sgpr_workgroup_id_y 0
		.amdhsa_system_sgpr_workgroup_id_z 0
		.amdhsa_system_sgpr_workgroup_info 0
		.amdhsa_system_vgpr_workitem_id 0
		.amdhsa_next_free_vgpr 6
		.amdhsa_next_free_sgpr 15
		.amdhsa_reserve_vcc 1
		.amdhsa_reserve_flat_scratch 0
		.amdhsa_float_round_mode_32 0
		.amdhsa_float_round_mode_16_64 0
		.amdhsa_float_denorm_mode_32 3
		.amdhsa_float_denorm_mode_16_64 3
		.amdhsa_dx10_clamp 1
		.amdhsa_ieee_mode 1
		.amdhsa_fp16_overflow 0
		.amdhsa_exception_fp_ieee_invalid_op 0
		.amdhsa_exception_fp_denorm_src 0
		.amdhsa_exception_fp_ieee_div_zero 0
		.amdhsa_exception_fp_ieee_overflow 0
		.amdhsa_exception_fp_ieee_underflow 0
		.amdhsa_exception_fp_ieee_inexact 0
		.amdhsa_exception_int_div_zero 0
	.end_amdhsa_kernel
	.section	.text._Z18warp_reduce_kernelIfLj61ELj100EENSt9enable_ifIXsr15benchmark_utilsE35device_test_enabled_for_warp_size_vIXT0_EEEvE4typeEPKT_PS3_,"axG",@progbits,_Z18warp_reduce_kernelIfLj61ELj100EENSt9enable_ifIXsr15benchmark_utilsE35device_test_enabled_for_warp_size_vIXT0_EEEvE4typeEPKT_PS3_,comdat
.Lfunc_end12:
	.size	_Z18warp_reduce_kernelIfLj61ELj100EENSt9enable_ifIXsr15benchmark_utilsE35device_test_enabled_for_warp_size_vIXT0_EEEvE4typeEPKT_PS3_, .Lfunc_end12-_Z18warp_reduce_kernelIfLj61ELj100EENSt9enable_ifIXsr15benchmark_utilsE35device_test_enabled_for_warp_size_vIXT0_EEEvE4typeEPKT_PS3_
                                        ; -- End function
	.set _Z18warp_reduce_kernelIfLj61ELj100EENSt9enable_ifIXsr15benchmark_utilsE35device_test_enabled_for_warp_size_vIXT0_EEEvE4typeEPKT_PS3_.num_vgpr, 6
	.set _Z18warp_reduce_kernelIfLj61ELj100EENSt9enable_ifIXsr15benchmark_utilsE35device_test_enabled_for_warp_size_vIXT0_EEEvE4typeEPKT_PS3_.num_agpr, 0
	.set _Z18warp_reduce_kernelIfLj61ELj100EENSt9enable_ifIXsr15benchmark_utilsE35device_test_enabled_for_warp_size_vIXT0_EEEvE4typeEPKT_PS3_.numbered_sgpr, 15
	.set _Z18warp_reduce_kernelIfLj61ELj100EENSt9enable_ifIXsr15benchmark_utilsE35device_test_enabled_for_warp_size_vIXT0_EEEvE4typeEPKT_PS3_.num_named_barrier, 0
	.set _Z18warp_reduce_kernelIfLj61ELj100EENSt9enable_ifIXsr15benchmark_utilsE35device_test_enabled_for_warp_size_vIXT0_EEEvE4typeEPKT_PS3_.private_seg_size, 0
	.set _Z18warp_reduce_kernelIfLj61ELj100EENSt9enable_ifIXsr15benchmark_utilsE35device_test_enabled_for_warp_size_vIXT0_EEEvE4typeEPKT_PS3_.uses_vcc, 1
	.set _Z18warp_reduce_kernelIfLj61ELj100EENSt9enable_ifIXsr15benchmark_utilsE35device_test_enabled_for_warp_size_vIXT0_EEEvE4typeEPKT_PS3_.uses_flat_scratch, 0
	.set _Z18warp_reduce_kernelIfLj61ELj100EENSt9enable_ifIXsr15benchmark_utilsE35device_test_enabled_for_warp_size_vIXT0_EEEvE4typeEPKT_PS3_.has_dyn_sized_stack, 0
	.set _Z18warp_reduce_kernelIfLj61ELj100EENSt9enable_ifIXsr15benchmark_utilsE35device_test_enabled_for_warp_size_vIXT0_EEEvE4typeEPKT_PS3_.has_recursion, 0
	.set _Z18warp_reduce_kernelIfLj61ELj100EENSt9enable_ifIXsr15benchmark_utilsE35device_test_enabled_for_warp_size_vIXT0_EEEvE4typeEPKT_PS3_.has_indirect_call, 0
	.section	.AMDGPU.csdata,"",@progbits
; Kernel info:
; codeLenInByte = 484
; TotalNumSgprs: 19
; NumVgprs: 6
; ScratchSize: 0
; MemoryBound: 0
; FloatMode: 240
; IeeeMode: 1
; LDSByteSize: 244 bytes/workgroup (compile time only)
; SGPRBlocks: 2
; VGPRBlocks: 1
; NumSGPRsForWavesPerEU: 19
; NumVGPRsForWavesPerEU: 6
; Occupancy: 10
; WaveLimiterHint : 0
; COMPUTE_PGM_RSRC2:SCRATCH_EN: 0
; COMPUTE_PGM_RSRC2:USER_SGPR: 6
; COMPUTE_PGM_RSRC2:TRAP_HANDLER: 0
; COMPUTE_PGM_RSRC2:TGID_X_EN: 1
; COMPUTE_PGM_RSRC2:TGID_Y_EN: 0
; COMPUTE_PGM_RSRC2:TGID_Z_EN: 0
; COMPUTE_PGM_RSRC2:TIDIG_COMP_CNT: 0
	.section	.text._Z18warp_reduce_kernelIfLj64ELj100EENSt9enable_ifIXsr15benchmark_utilsE35device_test_enabled_for_warp_size_vIXT0_EEEvE4typeEPKT_PS3_,"axG",@progbits,_Z18warp_reduce_kernelIfLj64ELj100EENSt9enable_ifIXsr15benchmark_utilsE35device_test_enabled_for_warp_size_vIXT0_EEEvE4typeEPKT_PS3_,comdat
	.protected	_Z18warp_reduce_kernelIfLj64ELj100EENSt9enable_ifIXsr15benchmark_utilsE35device_test_enabled_for_warp_size_vIXT0_EEEvE4typeEPKT_PS3_ ; -- Begin function _Z18warp_reduce_kernelIfLj64ELj100EENSt9enable_ifIXsr15benchmark_utilsE35device_test_enabled_for_warp_size_vIXT0_EEEvE4typeEPKT_PS3_
	.globl	_Z18warp_reduce_kernelIfLj64ELj100EENSt9enable_ifIXsr15benchmark_utilsE35device_test_enabled_for_warp_size_vIXT0_EEEvE4typeEPKT_PS3_
	.p2align	8
	.type	_Z18warp_reduce_kernelIfLj64ELj100EENSt9enable_ifIXsr15benchmark_utilsE35device_test_enabled_for_warp_size_vIXT0_EEEvE4typeEPKT_PS3_,@function
_Z18warp_reduce_kernelIfLj64ELj100EENSt9enable_ifIXsr15benchmark_utilsE35device_test_enabled_for_warp_size_vIXT0_EEEvE4typeEPKT_PS3_: ; @_Z18warp_reduce_kernelIfLj64ELj100EENSt9enable_ifIXsr15benchmark_utilsE35device_test_enabled_for_warp_size_vIXT0_EEEvE4typeEPKT_PS3_
; %bb.0:
	s_load_dword s7, s[4:5], 0x1c
	s_load_dwordx4 s[0:3], s[4:5], 0x0
	v_mov_b32_e32 v1, 0
	v_bfrev_b32_e32 v4, 0.5
	s_waitcnt lgkmcnt(0)
	s_and_b32 s4, s7, 0xffff
	s_mul_i32 s6, s6, s4
	v_add_u32_e32 v0, s6, v0
	v_lshlrev_b64 v[0:1], 2, v[0:1]
	v_mov_b32_e32 v3, s1
	v_add_co_u32_e32 v2, vcc, s0, v0
	v_addc_co_u32_e32 v3, vcc, v3, v1, vcc
	global_load_dword v2, v[2:3], off
	v_mbcnt_lo_u32_b32 v3, -1, 0
	v_mbcnt_hi_u32_b32 v3, -1, v3
	v_lshl_or_b32 v3, v3, 2, v4
	s_movk_i32 s0, 0x64
.LBB13_1:                               ; =>This Inner Loop Header: Depth=1
	s_waitcnt vmcnt(0) lgkmcnt(0)
	v_mov_b32_dpp v4, v2 quad_perm:[1,0,3,2] row_mask:0xf bank_mask:0xf
	v_add_f32_e32 v2, v2, v4
	s_add_i32 s0, s0, -1
	s_cmp_eq_u32 s0, 0
	v_mov_b32_dpp v4, v2 quad_perm:[2,3,0,1] row_mask:0xf bank_mask:0xf
	v_add_f32_e32 v2, v2, v4
	s_nop 1
	v_mov_b32_dpp v4, v2 row_ror:4 row_mask:0xf bank_mask:0xf
	v_add_f32_e32 v2, v2, v4
	s_nop 1
	v_mov_b32_dpp v4, v2 row_ror:8 row_mask:0xf bank_mask:0xf
	v_add_f32_e32 v2, v2, v4
	s_nop 1
	v_mov_b32_dpp v4, v2 row_bcast:15 row_mask:0xf bank_mask:0xf
	v_add_f32_e32 v2, v2, v4
	s_nop 1
	v_mov_b32_dpp v4, v2 row_bcast:31 row_mask:0xf bank_mask:0xf
	v_add_f32_e32 v2, v2, v4
	ds_bpermute_b32 v2, v3, v2
	s_cbranch_scc0 .LBB13_1
; %bb.2:
	v_mov_b32_e32 v3, s3
	v_add_co_u32_e32 v0, vcc, s2, v0
	v_addc_co_u32_e32 v1, vcc, v3, v1, vcc
	s_waitcnt lgkmcnt(0)
	global_store_dword v[0:1], v2, off
	s_endpgm
	.section	.rodata,"a",@progbits
	.p2align	6, 0x0
	.amdhsa_kernel _Z18warp_reduce_kernelIfLj64ELj100EENSt9enable_ifIXsr15benchmark_utilsE35device_test_enabled_for_warp_size_vIXT0_EEEvE4typeEPKT_PS3_
		.amdhsa_group_segment_fixed_size 0
		.amdhsa_private_segment_fixed_size 0
		.amdhsa_kernarg_size 272
		.amdhsa_user_sgpr_count 6
		.amdhsa_user_sgpr_private_segment_buffer 1
		.amdhsa_user_sgpr_dispatch_ptr 0
		.amdhsa_user_sgpr_queue_ptr 0
		.amdhsa_user_sgpr_kernarg_segment_ptr 1
		.amdhsa_user_sgpr_dispatch_id 0
		.amdhsa_user_sgpr_flat_scratch_init 0
		.amdhsa_user_sgpr_private_segment_size 0
		.amdhsa_uses_dynamic_stack 0
		.amdhsa_system_sgpr_private_segment_wavefront_offset 0
		.amdhsa_system_sgpr_workgroup_id_x 1
		.amdhsa_system_sgpr_workgroup_id_y 0
		.amdhsa_system_sgpr_workgroup_id_z 0
		.amdhsa_system_sgpr_workgroup_info 0
		.amdhsa_system_vgpr_workitem_id 0
		.amdhsa_next_free_vgpr 5
		.amdhsa_next_free_sgpr 8
		.amdhsa_reserve_vcc 1
		.amdhsa_reserve_flat_scratch 0
		.amdhsa_float_round_mode_32 0
		.amdhsa_float_round_mode_16_64 0
		.amdhsa_float_denorm_mode_32 3
		.amdhsa_float_denorm_mode_16_64 3
		.amdhsa_dx10_clamp 1
		.amdhsa_ieee_mode 1
		.amdhsa_fp16_overflow 0
		.amdhsa_exception_fp_ieee_invalid_op 0
		.amdhsa_exception_fp_denorm_src 0
		.amdhsa_exception_fp_ieee_div_zero 0
		.amdhsa_exception_fp_ieee_overflow 0
		.amdhsa_exception_fp_ieee_underflow 0
		.amdhsa_exception_fp_ieee_inexact 0
		.amdhsa_exception_int_div_zero 0
	.end_amdhsa_kernel
	.section	.text._Z18warp_reduce_kernelIfLj64ELj100EENSt9enable_ifIXsr15benchmark_utilsE35device_test_enabled_for_warp_size_vIXT0_EEEvE4typeEPKT_PS3_,"axG",@progbits,_Z18warp_reduce_kernelIfLj64ELj100EENSt9enable_ifIXsr15benchmark_utilsE35device_test_enabled_for_warp_size_vIXT0_EEEvE4typeEPKT_PS3_,comdat
.Lfunc_end13:
	.size	_Z18warp_reduce_kernelIfLj64ELj100EENSt9enable_ifIXsr15benchmark_utilsE35device_test_enabled_for_warp_size_vIXT0_EEEvE4typeEPKT_PS3_, .Lfunc_end13-_Z18warp_reduce_kernelIfLj64ELj100EENSt9enable_ifIXsr15benchmark_utilsE35device_test_enabled_for_warp_size_vIXT0_EEEvE4typeEPKT_PS3_
                                        ; -- End function
	.set _Z18warp_reduce_kernelIfLj64ELj100EENSt9enable_ifIXsr15benchmark_utilsE35device_test_enabled_for_warp_size_vIXT0_EEEvE4typeEPKT_PS3_.num_vgpr, 5
	.set _Z18warp_reduce_kernelIfLj64ELj100EENSt9enable_ifIXsr15benchmark_utilsE35device_test_enabled_for_warp_size_vIXT0_EEEvE4typeEPKT_PS3_.num_agpr, 0
	.set _Z18warp_reduce_kernelIfLj64ELj100EENSt9enable_ifIXsr15benchmark_utilsE35device_test_enabled_for_warp_size_vIXT0_EEEvE4typeEPKT_PS3_.numbered_sgpr, 8
	.set _Z18warp_reduce_kernelIfLj64ELj100EENSt9enable_ifIXsr15benchmark_utilsE35device_test_enabled_for_warp_size_vIXT0_EEEvE4typeEPKT_PS3_.num_named_barrier, 0
	.set _Z18warp_reduce_kernelIfLj64ELj100EENSt9enable_ifIXsr15benchmark_utilsE35device_test_enabled_for_warp_size_vIXT0_EEEvE4typeEPKT_PS3_.private_seg_size, 0
	.set _Z18warp_reduce_kernelIfLj64ELj100EENSt9enable_ifIXsr15benchmark_utilsE35device_test_enabled_for_warp_size_vIXT0_EEEvE4typeEPKT_PS3_.uses_vcc, 1
	.set _Z18warp_reduce_kernelIfLj64ELj100EENSt9enable_ifIXsr15benchmark_utilsE35device_test_enabled_for_warp_size_vIXT0_EEEvE4typeEPKT_PS3_.uses_flat_scratch, 0
	.set _Z18warp_reduce_kernelIfLj64ELj100EENSt9enable_ifIXsr15benchmark_utilsE35device_test_enabled_for_warp_size_vIXT0_EEEvE4typeEPKT_PS3_.has_dyn_sized_stack, 0
	.set _Z18warp_reduce_kernelIfLj64ELj100EENSt9enable_ifIXsr15benchmark_utilsE35device_test_enabled_for_warp_size_vIXT0_EEEvE4typeEPKT_PS3_.has_recursion, 0
	.set _Z18warp_reduce_kernelIfLj64ELj100EENSt9enable_ifIXsr15benchmark_utilsE35device_test_enabled_for_warp_size_vIXT0_EEEvE4typeEPKT_PS3_.has_indirect_call, 0
	.section	.AMDGPU.csdata,"",@progbits
; Kernel info:
; codeLenInByte = 240
; TotalNumSgprs: 12
; NumVgprs: 5
; ScratchSize: 0
; MemoryBound: 0
; FloatMode: 240
; IeeeMode: 1
; LDSByteSize: 0 bytes/workgroup (compile time only)
; SGPRBlocks: 1
; VGPRBlocks: 1
; NumSGPRsForWavesPerEU: 12
; NumVGPRsForWavesPerEU: 5
; Occupancy: 10
; WaveLimiterHint : 0
; COMPUTE_PGM_RSRC2:SCRATCH_EN: 0
; COMPUTE_PGM_RSRC2:USER_SGPR: 6
; COMPUTE_PGM_RSRC2:TRAP_HANDLER: 0
; COMPUTE_PGM_RSRC2:TGID_X_EN: 1
; COMPUTE_PGM_RSRC2:TGID_Y_EN: 0
; COMPUTE_PGM_RSRC2:TGID_Z_EN: 0
; COMPUTE_PGM_RSRC2:TIDIG_COMP_CNT: 0
	.section	.text._Z18warp_reduce_kernelIdLj15ELj100EENSt9enable_ifIXsr15benchmark_utilsE35device_test_enabled_for_warp_size_vIXT0_EEEvE4typeEPKT_PS3_,"axG",@progbits,_Z18warp_reduce_kernelIdLj15ELj100EENSt9enable_ifIXsr15benchmark_utilsE35device_test_enabled_for_warp_size_vIXT0_EEEvE4typeEPKT_PS3_,comdat
	.protected	_Z18warp_reduce_kernelIdLj15ELj100EENSt9enable_ifIXsr15benchmark_utilsE35device_test_enabled_for_warp_size_vIXT0_EEEvE4typeEPKT_PS3_ ; -- Begin function _Z18warp_reduce_kernelIdLj15ELj100EENSt9enable_ifIXsr15benchmark_utilsE35device_test_enabled_for_warp_size_vIXT0_EEEvE4typeEPKT_PS3_
	.globl	_Z18warp_reduce_kernelIdLj15ELj100EENSt9enable_ifIXsr15benchmark_utilsE35device_test_enabled_for_warp_size_vIXT0_EEEvE4typeEPKT_PS3_
	.p2align	8
	.type	_Z18warp_reduce_kernelIdLj15ELj100EENSt9enable_ifIXsr15benchmark_utilsE35device_test_enabled_for_warp_size_vIXT0_EEEvE4typeEPKT_PS3_,@function
_Z18warp_reduce_kernelIdLj15ELj100EENSt9enable_ifIXsr15benchmark_utilsE35device_test_enabled_for_warp_size_vIXT0_EEEvE4typeEPKT_PS3_: ; @_Z18warp_reduce_kernelIdLj15ELj100EENSt9enable_ifIXsr15benchmark_utilsE35device_test_enabled_for_warp_size_vIXT0_EEEvE4typeEPKT_PS3_
; %bb.0:
	s_load_dword s0, s[4:5], 0x1c
	s_load_dwordx4 s[8:11], s[4:5], 0x0
	v_mov_b32_e32 v1, 0
	v_mbcnt_lo_u32_b32 v4, -1, 0
	v_mbcnt_hi_u32_b32 v4, -1, v4
	s_waitcnt lgkmcnt(0)
	s_and_b32 s0, s0, 0xffff
	s_mul_i32 s6, s6, s0
	v_add_u32_e32 v0, s6, v0
	v_lshlrev_b64 v[0:1], 3, v[0:1]
	v_mov_b32_e32 v3, s9
	v_add_co_u32_e32 v2, vcc, s8, v0
	v_addc_co_u32_e32 v3, vcc, v3, v1, vcc
	global_load_dwordx2 v[2:3], v[2:3], off
	s_mov_b32 s0, 0x11111112
	v_mul_hi_u32 v5, v4, s0
	s_movk_i32 s8, 0x64
	v_mul_u32_u24_e32 v5, 15, v5
	v_sub_u32_e32 v5, v4, v5
	v_lshlrev_b32_e32 v4, 3, v5
	v_cmp_gt_u32_e32 vcc, 7, v5
	v_cmp_gt_u32_e64 s[0:1], 4, v5
	v_cmp_gt_u32_e64 s[2:3], 2, v5
	v_cmp_eq_u32_e64 s[4:5], 0, v5
	s_branch .LBB14_2
.LBB14_1:                               ;   in Loop: Header=BB14_2 Depth=1
	s_or_b64 exec, exec, s[6:7]
	s_add_i32 s8, s8, -1
	s_cmp_eq_u32 s8, 0
	; wave barrier
	s_cbranch_scc1 .LBB14_18
.LBB14_2:                               ; =>This Inner Loop Header: Depth=1
	s_waitcnt vmcnt(0)
	ds_write_b64 v4, v[2:3]
	; wave barrier
	s_and_saveexec_b64 s[6:7], vcc
	s_cbranch_execz .LBB14_4
; %bb.3:                                ;   in Loop: Header=BB14_2 Depth=1
	ds_read2_b64 v[5:8], v4 offset1:8
	s_waitcnt lgkmcnt(0)
	v_add_f64 v[2:3], v[5:6], v[7:8]
.LBB14_4:                               ;   in Loop: Header=BB14_2 Depth=1
	s_or_b64 exec, exec, s[6:7]
	; wave barrier
	s_and_saveexec_b64 s[6:7], vcc
; %bb.5:                                ;   in Loop: Header=BB14_2 Depth=1
	ds_write_b64 v4, v[2:3]
; %bb.6:                                ;   in Loop: Header=BB14_2 Depth=1
	s_or_b64 exec, exec, s[6:7]
	; wave barrier
	s_and_saveexec_b64 s[6:7], s[0:1]
	s_cbranch_execz .LBB14_8
; %bb.7:                                ;   in Loop: Header=BB14_2 Depth=1
	ds_read2_b64 v[5:8], v4 offset1:4
	s_waitcnt lgkmcnt(0)
	v_add_f64 v[2:3], v[5:6], v[7:8]
.LBB14_8:                               ;   in Loop: Header=BB14_2 Depth=1
	s_or_b64 exec, exec, s[6:7]
	; wave barrier
	s_and_saveexec_b64 s[6:7], s[0:1]
; %bb.9:                                ;   in Loop: Header=BB14_2 Depth=1
	ds_write_b64 v4, v[2:3]
; %bb.10:                               ;   in Loop: Header=BB14_2 Depth=1
	s_or_b64 exec, exec, s[6:7]
	; wave barrier
	s_and_saveexec_b64 s[6:7], s[2:3]
	s_cbranch_execz .LBB14_12
; %bb.11:                               ;   in Loop: Header=BB14_2 Depth=1
	ds_read2_b64 v[5:8], v4 offset1:2
	s_waitcnt lgkmcnt(0)
	v_add_f64 v[2:3], v[5:6], v[7:8]
.LBB14_12:                              ;   in Loop: Header=BB14_2 Depth=1
	s_or_b64 exec, exec, s[6:7]
	; wave barrier
	s_and_saveexec_b64 s[6:7], s[2:3]
; %bb.13:                               ;   in Loop: Header=BB14_2 Depth=1
	ds_write_b64 v4, v[2:3]
; %bb.14:                               ;   in Loop: Header=BB14_2 Depth=1
	s_or_b64 exec, exec, s[6:7]
	; wave barrier
	s_and_saveexec_b64 s[6:7], s[4:5]
	s_cbranch_execz .LBB14_16
; %bb.15:                               ;   in Loop: Header=BB14_2 Depth=1
	ds_read2_b64 v[5:8], v4 offset1:1
	s_waitcnt lgkmcnt(0)
	v_add_f64 v[2:3], v[5:6], v[7:8]
.LBB14_16:                              ;   in Loop: Header=BB14_2 Depth=1
	s_or_b64 exec, exec, s[6:7]
	; wave barrier
	s_and_saveexec_b64 s[6:7], s[4:5]
	s_cbranch_execz .LBB14_1
; %bb.17:                               ;   in Loop: Header=BB14_2 Depth=1
	ds_write_b64 v4, v[2:3]
	s_branch .LBB14_1
.LBB14_18:
	v_mov_b32_e32 v4, s11
	v_add_co_u32_e32 v0, vcc, s10, v0
	v_addc_co_u32_e32 v1, vcc, v4, v1, vcc
	global_store_dwordx2 v[0:1], v[2:3], off
	s_endpgm
	.section	.rodata,"a",@progbits
	.p2align	6, 0x0
	.amdhsa_kernel _Z18warp_reduce_kernelIdLj15ELj100EENSt9enable_ifIXsr15benchmark_utilsE35device_test_enabled_for_warp_size_vIXT0_EEEvE4typeEPKT_PS3_
		.amdhsa_group_segment_fixed_size 120
		.amdhsa_private_segment_fixed_size 0
		.amdhsa_kernarg_size 272
		.amdhsa_user_sgpr_count 6
		.amdhsa_user_sgpr_private_segment_buffer 1
		.amdhsa_user_sgpr_dispatch_ptr 0
		.amdhsa_user_sgpr_queue_ptr 0
		.amdhsa_user_sgpr_kernarg_segment_ptr 1
		.amdhsa_user_sgpr_dispatch_id 0
		.amdhsa_user_sgpr_flat_scratch_init 0
		.amdhsa_user_sgpr_private_segment_size 0
		.amdhsa_uses_dynamic_stack 0
		.amdhsa_system_sgpr_private_segment_wavefront_offset 0
		.amdhsa_system_sgpr_workgroup_id_x 1
		.amdhsa_system_sgpr_workgroup_id_y 0
		.amdhsa_system_sgpr_workgroup_id_z 0
		.amdhsa_system_sgpr_workgroup_info 0
		.amdhsa_system_vgpr_workitem_id 0
		.amdhsa_next_free_vgpr 9
		.amdhsa_next_free_sgpr 12
		.amdhsa_reserve_vcc 1
		.amdhsa_reserve_flat_scratch 0
		.amdhsa_float_round_mode_32 0
		.amdhsa_float_round_mode_16_64 0
		.amdhsa_float_denorm_mode_32 3
		.amdhsa_float_denorm_mode_16_64 3
		.amdhsa_dx10_clamp 1
		.amdhsa_ieee_mode 1
		.amdhsa_fp16_overflow 0
		.amdhsa_exception_fp_ieee_invalid_op 0
		.amdhsa_exception_fp_denorm_src 0
		.amdhsa_exception_fp_ieee_div_zero 0
		.amdhsa_exception_fp_ieee_overflow 0
		.amdhsa_exception_fp_ieee_underflow 0
		.amdhsa_exception_fp_ieee_inexact 0
		.amdhsa_exception_int_div_zero 0
	.end_amdhsa_kernel
	.section	.text._Z18warp_reduce_kernelIdLj15ELj100EENSt9enable_ifIXsr15benchmark_utilsE35device_test_enabled_for_warp_size_vIXT0_EEEvE4typeEPKT_PS3_,"axG",@progbits,_Z18warp_reduce_kernelIdLj15ELj100EENSt9enable_ifIXsr15benchmark_utilsE35device_test_enabled_for_warp_size_vIXT0_EEEvE4typeEPKT_PS3_,comdat
.Lfunc_end14:
	.size	_Z18warp_reduce_kernelIdLj15ELj100EENSt9enable_ifIXsr15benchmark_utilsE35device_test_enabled_for_warp_size_vIXT0_EEEvE4typeEPKT_PS3_, .Lfunc_end14-_Z18warp_reduce_kernelIdLj15ELj100EENSt9enable_ifIXsr15benchmark_utilsE35device_test_enabled_for_warp_size_vIXT0_EEEvE4typeEPKT_PS3_
                                        ; -- End function
	.set _Z18warp_reduce_kernelIdLj15ELj100EENSt9enable_ifIXsr15benchmark_utilsE35device_test_enabled_for_warp_size_vIXT0_EEEvE4typeEPKT_PS3_.num_vgpr, 9
	.set _Z18warp_reduce_kernelIdLj15ELj100EENSt9enable_ifIXsr15benchmark_utilsE35device_test_enabled_for_warp_size_vIXT0_EEEvE4typeEPKT_PS3_.num_agpr, 0
	.set _Z18warp_reduce_kernelIdLj15ELj100EENSt9enable_ifIXsr15benchmark_utilsE35device_test_enabled_for_warp_size_vIXT0_EEEvE4typeEPKT_PS3_.numbered_sgpr, 12
	.set _Z18warp_reduce_kernelIdLj15ELj100EENSt9enable_ifIXsr15benchmark_utilsE35device_test_enabled_for_warp_size_vIXT0_EEEvE4typeEPKT_PS3_.num_named_barrier, 0
	.set _Z18warp_reduce_kernelIdLj15ELj100EENSt9enable_ifIXsr15benchmark_utilsE35device_test_enabled_for_warp_size_vIXT0_EEEvE4typeEPKT_PS3_.private_seg_size, 0
	.set _Z18warp_reduce_kernelIdLj15ELj100EENSt9enable_ifIXsr15benchmark_utilsE35device_test_enabled_for_warp_size_vIXT0_EEEvE4typeEPKT_PS3_.uses_vcc, 1
	.set _Z18warp_reduce_kernelIdLj15ELj100EENSt9enable_ifIXsr15benchmark_utilsE35device_test_enabled_for_warp_size_vIXT0_EEEvE4typeEPKT_PS3_.uses_flat_scratch, 0
	.set _Z18warp_reduce_kernelIdLj15ELj100EENSt9enable_ifIXsr15benchmark_utilsE35device_test_enabled_for_warp_size_vIXT0_EEEvE4typeEPKT_PS3_.has_dyn_sized_stack, 0
	.set _Z18warp_reduce_kernelIdLj15ELj100EENSt9enable_ifIXsr15benchmark_utilsE35device_test_enabled_for_warp_size_vIXT0_EEEvE4typeEPKT_PS3_.has_recursion, 0
	.set _Z18warp_reduce_kernelIdLj15ELj100EENSt9enable_ifIXsr15benchmark_utilsE35device_test_enabled_for_warp_size_vIXT0_EEEvE4typeEPKT_PS3_.has_indirect_call, 0
	.section	.AMDGPU.csdata,"",@progbits
; Kernel info:
; codeLenInByte = 396
; TotalNumSgprs: 16
; NumVgprs: 9
; ScratchSize: 0
; MemoryBound: 0
; FloatMode: 240
; IeeeMode: 1
; LDSByteSize: 120 bytes/workgroup (compile time only)
; SGPRBlocks: 1
; VGPRBlocks: 2
; NumSGPRsForWavesPerEU: 16
; NumVGPRsForWavesPerEU: 9
; Occupancy: 10
; WaveLimiterHint : 0
; COMPUTE_PGM_RSRC2:SCRATCH_EN: 0
; COMPUTE_PGM_RSRC2:USER_SGPR: 6
; COMPUTE_PGM_RSRC2:TRAP_HANDLER: 0
; COMPUTE_PGM_RSRC2:TGID_X_EN: 1
; COMPUTE_PGM_RSRC2:TGID_Y_EN: 0
; COMPUTE_PGM_RSRC2:TGID_Z_EN: 0
; COMPUTE_PGM_RSRC2:TIDIG_COMP_CNT: 0
	.section	.text._Z18warp_reduce_kernelIdLj16ELj100EENSt9enable_ifIXsr15benchmark_utilsE35device_test_enabled_for_warp_size_vIXT0_EEEvE4typeEPKT_PS3_,"axG",@progbits,_Z18warp_reduce_kernelIdLj16ELj100EENSt9enable_ifIXsr15benchmark_utilsE35device_test_enabled_for_warp_size_vIXT0_EEEvE4typeEPKT_PS3_,comdat
	.protected	_Z18warp_reduce_kernelIdLj16ELj100EENSt9enable_ifIXsr15benchmark_utilsE35device_test_enabled_for_warp_size_vIXT0_EEEvE4typeEPKT_PS3_ ; -- Begin function _Z18warp_reduce_kernelIdLj16ELj100EENSt9enable_ifIXsr15benchmark_utilsE35device_test_enabled_for_warp_size_vIXT0_EEEvE4typeEPKT_PS3_
	.globl	_Z18warp_reduce_kernelIdLj16ELj100EENSt9enable_ifIXsr15benchmark_utilsE35device_test_enabled_for_warp_size_vIXT0_EEEvE4typeEPKT_PS3_
	.p2align	8
	.type	_Z18warp_reduce_kernelIdLj16ELj100EENSt9enable_ifIXsr15benchmark_utilsE35device_test_enabled_for_warp_size_vIXT0_EEEvE4typeEPKT_PS3_,@function
_Z18warp_reduce_kernelIdLj16ELj100EENSt9enable_ifIXsr15benchmark_utilsE35device_test_enabled_for_warp_size_vIXT0_EEEvE4typeEPKT_PS3_: ; @_Z18warp_reduce_kernelIdLj16ELj100EENSt9enable_ifIXsr15benchmark_utilsE35device_test_enabled_for_warp_size_vIXT0_EEEvE4typeEPKT_PS3_
; %bb.0:
	s_load_dword s7, s[4:5], 0x1c
	s_load_dwordx4 s[0:3], s[4:5], 0x0
	v_mov_b32_e32 v1, 0
	v_mbcnt_lo_u32_b32 v4, -1, 0
	v_mbcnt_hi_u32_b32 v7, -1, v4
	s_waitcnt lgkmcnt(0)
	s_and_b32 s4, s7, 0xffff
	s_mul_i32 s6, s6, s4
	v_add_u32_e32 v0, s6, v0
	v_lshlrev_b64 v[0:1], 3, v[0:1]
	v_mov_b32_e32 v3, s1
	v_add_co_u32_e32 v2, vcc, s0, v0
	v_addc_co_u32_e32 v3, vcc, v3, v1, vcc
	global_load_dwordx2 v[2:3], v[2:3], off
	v_and_b32_e32 v6, 15, v7
	v_cmp_ne_u32_e32 vcc, 15, v6
	v_addc_co_u32_e32 v4, vcc, 0, v7, vcc
	v_cmp_gt_u32_e32 vcc, 14, v6
	v_cndmask_b32_e64 v5, 0, 2, vcc
	v_cmp_gt_u32_e32 vcc, 12, v6
	v_cndmask_b32_e64 v6, 0, 4, vcc
	v_lshlrev_b32_e32 v4, 2, v4
	v_add_lshl_u32 v5, v5, v7, 2
	v_add_lshl_u32 v6, v6, v7, 2
	v_lshl_or_b32 v7, v7, 2, 32
	s_movk_i32 s0, 0x64
.LBB15_1:                               ; =>This Inner Loop Header: Depth=1
	s_waitcnt vmcnt(0)
	ds_bpermute_b32 v8, v4, v2
	ds_bpermute_b32 v9, v4, v3
	s_add_i32 s0, s0, -1
	s_cmp_eq_u32 s0, 0
	s_waitcnt lgkmcnt(0)
	v_add_f64 v[2:3], v[2:3], v[8:9]
	ds_bpermute_b32 v8, v5, v2
	ds_bpermute_b32 v9, v5, v3
	s_waitcnt lgkmcnt(0)
	v_add_f64 v[2:3], v[2:3], v[8:9]
	ds_bpermute_b32 v8, v6, v2
	ds_bpermute_b32 v9, v6, v3
	;; [unrolled: 4-line block ×3, first 2 shown]
	s_waitcnt lgkmcnt(0)
	v_add_f64 v[2:3], v[2:3], v[8:9]
	s_cbranch_scc0 .LBB15_1
; %bb.2:
	v_mov_b32_e32 v4, s3
	v_add_co_u32_e32 v0, vcc, s2, v0
	v_addc_co_u32_e32 v1, vcc, v4, v1, vcc
	global_store_dwordx2 v[0:1], v[2:3], off
	s_endpgm
	.section	.rodata,"a",@progbits
	.p2align	6, 0x0
	.amdhsa_kernel _Z18warp_reduce_kernelIdLj16ELj100EENSt9enable_ifIXsr15benchmark_utilsE35device_test_enabled_for_warp_size_vIXT0_EEEvE4typeEPKT_PS3_
		.amdhsa_group_segment_fixed_size 0
		.amdhsa_private_segment_fixed_size 0
		.amdhsa_kernarg_size 272
		.amdhsa_user_sgpr_count 6
		.amdhsa_user_sgpr_private_segment_buffer 1
		.amdhsa_user_sgpr_dispatch_ptr 0
		.amdhsa_user_sgpr_queue_ptr 0
		.amdhsa_user_sgpr_kernarg_segment_ptr 1
		.amdhsa_user_sgpr_dispatch_id 0
		.amdhsa_user_sgpr_flat_scratch_init 0
		.amdhsa_user_sgpr_private_segment_size 0
		.amdhsa_uses_dynamic_stack 0
		.amdhsa_system_sgpr_private_segment_wavefront_offset 0
		.amdhsa_system_sgpr_workgroup_id_x 1
		.amdhsa_system_sgpr_workgroup_id_y 0
		.amdhsa_system_sgpr_workgroup_id_z 0
		.amdhsa_system_sgpr_workgroup_info 0
		.amdhsa_system_vgpr_workitem_id 0
		.amdhsa_next_free_vgpr 10
		.amdhsa_next_free_sgpr 8
		.amdhsa_reserve_vcc 1
		.amdhsa_reserve_flat_scratch 0
		.amdhsa_float_round_mode_32 0
		.amdhsa_float_round_mode_16_64 0
		.amdhsa_float_denorm_mode_32 3
		.amdhsa_float_denorm_mode_16_64 3
		.amdhsa_dx10_clamp 1
		.amdhsa_ieee_mode 1
		.amdhsa_fp16_overflow 0
		.amdhsa_exception_fp_ieee_invalid_op 0
		.amdhsa_exception_fp_denorm_src 0
		.amdhsa_exception_fp_ieee_div_zero 0
		.amdhsa_exception_fp_ieee_overflow 0
		.amdhsa_exception_fp_ieee_underflow 0
		.amdhsa_exception_fp_ieee_inexact 0
		.amdhsa_exception_int_div_zero 0
	.end_amdhsa_kernel
	.section	.text._Z18warp_reduce_kernelIdLj16ELj100EENSt9enable_ifIXsr15benchmark_utilsE35device_test_enabled_for_warp_size_vIXT0_EEEvE4typeEPKT_PS3_,"axG",@progbits,_Z18warp_reduce_kernelIdLj16ELj100EENSt9enable_ifIXsr15benchmark_utilsE35device_test_enabled_for_warp_size_vIXT0_EEEvE4typeEPKT_PS3_,comdat
.Lfunc_end15:
	.size	_Z18warp_reduce_kernelIdLj16ELj100EENSt9enable_ifIXsr15benchmark_utilsE35device_test_enabled_for_warp_size_vIXT0_EEEvE4typeEPKT_PS3_, .Lfunc_end15-_Z18warp_reduce_kernelIdLj16ELj100EENSt9enable_ifIXsr15benchmark_utilsE35device_test_enabled_for_warp_size_vIXT0_EEEvE4typeEPKT_PS3_
                                        ; -- End function
	.set _Z18warp_reduce_kernelIdLj16ELj100EENSt9enable_ifIXsr15benchmark_utilsE35device_test_enabled_for_warp_size_vIXT0_EEEvE4typeEPKT_PS3_.num_vgpr, 10
	.set _Z18warp_reduce_kernelIdLj16ELj100EENSt9enable_ifIXsr15benchmark_utilsE35device_test_enabled_for_warp_size_vIXT0_EEEvE4typeEPKT_PS3_.num_agpr, 0
	.set _Z18warp_reduce_kernelIdLj16ELj100EENSt9enable_ifIXsr15benchmark_utilsE35device_test_enabled_for_warp_size_vIXT0_EEEvE4typeEPKT_PS3_.numbered_sgpr, 8
	.set _Z18warp_reduce_kernelIdLj16ELj100EENSt9enable_ifIXsr15benchmark_utilsE35device_test_enabled_for_warp_size_vIXT0_EEEvE4typeEPKT_PS3_.num_named_barrier, 0
	.set _Z18warp_reduce_kernelIdLj16ELj100EENSt9enable_ifIXsr15benchmark_utilsE35device_test_enabled_for_warp_size_vIXT0_EEEvE4typeEPKT_PS3_.private_seg_size, 0
	.set _Z18warp_reduce_kernelIdLj16ELj100EENSt9enable_ifIXsr15benchmark_utilsE35device_test_enabled_for_warp_size_vIXT0_EEEvE4typeEPKT_PS3_.uses_vcc, 1
	.set _Z18warp_reduce_kernelIdLj16ELj100EENSt9enable_ifIXsr15benchmark_utilsE35device_test_enabled_for_warp_size_vIXT0_EEEvE4typeEPKT_PS3_.uses_flat_scratch, 0
	.set _Z18warp_reduce_kernelIdLj16ELj100EENSt9enable_ifIXsr15benchmark_utilsE35device_test_enabled_for_warp_size_vIXT0_EEEvE4typeEPKT_PS3_.has_dyn_sized_stack, 0
	.set _Z18warp_reduce_kernelIdLj16ELj100EENSt9enable_ifIXsr15benchmark_utilsE35device_test_enabled_for_warp_size_vIXT0_EEEvE4typeEPKT_PS3_.has_recursion, 0
	.set _Z18warp_reduce_kernelIdLj16ELj100EENSt9enable_ifIXsr15benchmark_utilsE35device_test_enabled_for_warp_size_vIXT0_EEEvE4typeEPKT_PS3_.has_indirect_call, 0
	.section	.AMDGPU.csdata,"",@progbits
; Kernel info:
; codeLenInByte = 304
; TotalNumSgprs: 12
; NumVgprs: 10
; ScratchSize: 0
; MemoryBound: 0
; FloatMode: 240
; IeeeMode: 1
; LDSByteSize: 0 bytes/workgroup (compile time only)
; SGPRBlocks: 1
; VGPRBlocks: 2
; NumSGPRsForWavesPerEU: 12
; NumVGPRsForWavesPerEU: 10
; Occupancy: 10
; WaveLimiterHint : 0
; COMPUTE_PGM_RSRC2:SCRATCH_EN: 0
; COMPUTE_PGM_RSRC2:USER_SGPR: 6
; COMPUTE_PGM_RSRC2:TRAP_HANDLER: 0
; COMPUTE_PGM_RSRC2:TGID_X_EN: 1
; COMPUTE_PGM_RSRC2:TGID_Y_EN: 0
; COMPUTE_PGM_RSRC2:TGID_Z_EN: 0
; COMPUTE_PGM_RSRC2:TIDIG_COMP_CNT: 0
	.section	.text._Z18warp_reduce_kernelIdLj31ELj100EENSt9enable_ifIXsr15benchmark_utilsE35device_test_enabled_for_warp_size_vIXT0_EEEvE4typeEPKT_PS3_,"axG",@progbits,_Z18warp_reduce_kernelIdLj31ELj100EENSt9enable_ifIXsr15benchmark_utilsE35device_test_enabled_for_warp_size_vIXT0_EEEvE4typeEPKT_PS3_,comdat
	.protected	_Z18warp_reduce_kernelIdLj31ELj100EENSt9enable_ifIXsr15benchmark_utilsE35device_test_enabled_for_warp_size_vIXT0_EEEvE4typeEPKT_PS3_ ; -- Begin function _Z18warp_reduce_kernelIdLj31ELj100EENSt9enable_ifIXsr15benchmark_utilsE35device_test_enabled_for_warp_size_vIXT0_EEEvE4typeEPKT_PS3_
	.globl	_Z18warp_reduce_kernelIdLj31ELj100EENSt9enable_ifIXsr15benchmark_utilsE35device_test_enabled_for_warp_size_vIXT0_EEEvE4typeEPKT_PS3_
	.p2align	8
	.type	_Z18warp_reduce_kernelIdLj31ELj100EENSt9enable_ifIXsr15benchmark_utilsE35device_test_enabled_for_warp_size_vIXT0_EEEvE4typeEPKT_PS3_,@function
_Z18warp_reduce_kernelIdLj31ELj100EENSt9enable_ifIXsr15benchmark_utilsE35device_test_enabled_for_warp_size_vIXT0_EEEvE4typeEPKT_PS3_: ; @_Z18warp_reduce_kernelIdLj31ELj100EENSt9enable_ifIXsr15benchmark_utilsE35device_test_enabled_for_warp_size_vIXT0_EEEvE4typeEPKT_PS3_
; %bb.0:
	s_load_dword s0, s[4:5], 0x1c
	s_load_dwordx4 s[8:11], s[4:5], 0x0
	v_mov_b32_e32 v1, 0
	v_mbcnt_lo_u32_b32 v4, -1, 0
	v_mbcnt_hi_u32_b32 v4, -1, v4
	s_waitcnt lgkmcnt(0)
	s_and_b32 s0, s0, 0xffff
	s_mul_i32 s6, s6, s0
	v_add_u32_e32 v0, s6, v0
	v_lshlrev_b64 v[0:1], 3, v[0:1]
	v_mov_b32_e32 v3, s9
	v_add_co_u32_e32 v2, vcc, s8, v0
	v_addc_co_u32_e32 v3, vcc, v3, v1, vcc
	global_load_dwordx2 v[2:3], v[2:3], off
	s_mov_b32 s0, 0x8421085
	v_mul_hi_u32 v5, v4, s0
	s_movk_i32 s12, 0x64
	v_mul_u32_u24_e32 v5, 31, v5
	v_sub_u32_e32 v5, v4, v5
	v_lshlrev_b32_e32 v4, 3, v5
	v_cmp_gt_u32_e32 vcc, 15, v5
	v_cmp_gt_u32_e64 s[0:1], 8, v5
	v_cmp_gt_u32_e64 s[2:3], 4, v5
	v_cmp_gt_u32_e64 s[4:5], 2, v5
	v_cmp_eq_u32_e64 s[6:7], 0, v5
	s_branch .LBB16_2
.LBB16_1:                               ;   in Loop: Header=BB16_2 Depth=1
	s_or_b64 exec, exec, s[8:9]
	s_add_i32 s12, s12, -1
	s_cmp_eq_u32 s12, 0
	; wave barrier
	s_cbranch_scc1 .LBB16_22
.LBB16_2:                               ; =>This Inner Loop Header: Depth=1
	s_waitcnt vmcnt(0)
	ds_write_b64 v4, v[2:3]
	; wave barrier
	s_and_saveexec_b64 s[8:9], vcc
	s_cbranch_execz .LBB16_4
; %bb.3:                                ;   in Loop: Header=BB16_2 Depth=1
	ds_read2_b64 v[5:8], v4 offset1:16
	s_waitcnt lgkmcnt(0)
	v_add_f64 v[2:3], v[5:6], v[7:8]
.LBB16_4:                               ;   in Loop: Header=BB16_2 Depth=1
	s_or_b64 exec, exec, s[8:9]
	; wave barrier
	s_and_saveexec_b64 s[8:9], vcc
; %bb.5:                                ;   in Loop: Header=BB16_2 Depth=1
	ds_write_b64 v4, v[2:3]
; %bb.6:                                ;   in Loop: Header=BB16_2 Depth=1
	s_or_b64 exec, exec, s[8:9]
	; wave barrier
	s_and_saveexec_b64 s[8:9], s[0:1]
	s_cbranch_execz .LBB16_8
; %bb.7:                                ;   in Loop: Header=BB16_2 Depth=1
	ds_read2_b64 v[5:8], v4 offset1:8
	s_waitcnt lgkmcnt(0)
	v_add_f64 v[2:3], v[5:6], v[7:8]
.LBB16_8:                               ;   in Loop: Header=BB16_2 Depth=1
	s_or_b64 exec, exec, s[8:9]
	; wave barrier
	s_and_saveexec_b64 s[8:9], s[0:1]
; %bb.9:                                ;   in Loop: Header=BB16_2 Depth=1
	ds_write_b64 v4, v[2:3]
; %bb.10:                               ;   in Loop: Header=BB16_2 Depth=1
	s_or_b64 exec, exec, s[8:9]
	; wave barrier
	s_and_saveexec_b64 s[8:9], s[2:3]
	s_cbranch_execz .LBB16_12
; %bb.11:                               ;   in Loop: Header=BB16_2 Depth=1
	ds_read2_b64 v[5:8], v4 offset1:4
	s_waitcnt lgkmcnt(0)
	v_add_f64 v[2:3], v[5:6], v[7:8]
.LBB16_12:                              ;   in Loop: Header=BB16_2 Depth=1
	s_or_b64 exec, exec, s[8:9]
	; wave barrier
	s_and_saveexec_b64 s[8:9], s[2:3]
; %bb.13:                               ;   in Loop: Header=BB16_2 Depth=1
	ds_write_b64 v4, v[2:3]
; %bb.14:                               ;   in Loop: Header=BB16_2 Depth=1
	s_or_b64 exec, exec, s[8:9]
	; wave barrier
	s_and_saveexec_b64 s[8:9], s[4:5]
	s_cbranch_execz .LBB16_16
; %bb.15:                               ;   in Loop: Header=BB16_2 Depth=1
	ds_read2_b64 v[5:8], v4 offset1:2
	s_waitcnt lgkmcnt(0)
	v_add_f64 v[2:3], v[5:6], v[7:8]
.LBB16_16:                              ;   in Loop: Header=BB16_2 Depth=1
	s_or_b64 exec, exec, s[8:9]
	; wave barrier
	s_and_saveexec_b64 s[8:9], s[4:5]
; %bb.17:                               ;   in Loop: Header=BB16_2 Depth=1
	ds_write_b64 v4, v[2:3]
; %bb.18:                               ;   in Loop: Header=BB16_2 Depth=1
	s_or_b64 exec, exec, s[8:9]
	; wave barrier
	s_and_saveexec_b64 s[8:9], s[6:7]
	s_cbranch_execz .LBB16_20
; %bb.19:                               ;   in Loop: Header=BB16_2 Depth=1
	ds_read2_b64 v[5:8], v4 offset1:1
	s_waitcnt lgkmcnt(0)
	v_add_f64 v[2:3], v[5:6], v[7:8]
.LBB16_20:                              ;   in Loop: Header=BB16_2 Depth=1
	s_or_b64 exec, exec, s[8:9]
	; wave barrier
	s_and_saveexec_b64 s[8:9], s[6:7]
	s_cbranch_execz .LBB16_1
; %bb.21:                               ;   in Loop: Header=BB16_2 Depth=1
	ds_write_b64 v4, v[2:3]
	s_branch .LBB16_1
.LBB16_22:
	v_mov_b32_e32 v4, s11
	v_add_co_u32_e32 v0, vcc, s10, v0
	v_addc_co_u32_e32 v1, vcc, v4, v1, vcc
	global_store_dwordx2 v[0:1], v[2:3], off
	s_endpgm
	.section	.rodata,"a",@progbits
	.p2align	6, 0x0
	.amdhsa_kernel _Z18warp_reduce_kernelIdLj31ELj100EENSt9enable_ifIXsr15benchmark_utilsE35device_test_enabled_for_warp_size_vIXT0_EEEvE4typeEPKT_PS3_
		.amdhsa_group_segment_fixed_size 248
		.amdhsa_private_segment_fixed_size 0
		.amdhsa_kernarg_size 272
		.amdhsa_user_sgpr_count 6
		.amdhsa_user_sgpr_private_segment_buffer 1
		.amdhsa_user_sgpr_dispatch_ptr 0
		.amdhsa_user_sgpr_queue_ptr 0
		.amdhsa_user_sgpr_kernarg_segment_ptr 1
		.amdhsa_user_sgpr_dispatch_id 0
		.amdhsa_user_sgpr_flat_scratch_init 0
		.amdhsa_user_sgpr_private_segment_size 0
		.amdhsa_uses_dynamic_stack 0
		.amdhsa_system_sgpr_private_segment_wavefront_offset 0
		.amdhsa_system_sgpr_workgroup_id_x 1
		.amdhsa_system_sgpr_workgroup_id_y 0
		.amdhsa_system_sgpr_workgroup_id_z 0
		.amdhsa_system_sgpr_workgroup_info 0
		.amdhsa_system_vgpr_workitem_id 0
		.amdhsa_next_free_vgpr 9
		.amdhsa_next_free_sgpr 13
		.amdhsa_reserve_vcc 1
		.amdhsa_reserve_flat_scratch 0
		.amdhsa_float_round_mode_32 0
		.amdhsa_float_round_mode_16_64 0
		.amdhsa_float_denorm_mode_32 3
		.amdhsa_float_denorm_mode_16_64 3
		.amdhsa_dx10_clamp 1
		.amdhsa_ieee_mode 1
		.amdhsa_fp16_overflow 0
		.amdhsa_exception_fp_ieee_invalid_op 0
		.amdhsa_exception_fp_denorm_src 0
		.amdhsa_exception_fp_ieee_div_zero 0
		.amdhsa_exception_fp_ieee_overflow 0
		.amdhsa_exception_fp_ieee_underflow 0
		.amdhsa_exception_fp_ieee_inexact 0
		.amdhsa_exception_int_div_zero 0
	.end_amdhsa_kernel
	.section	.text._Z18warp_reduce_kernelIdLj31ELj100EENSt9enable_ifIXsr15benchmark_utilsE35device_test_enabled_for_warp_size_vIXT0_EEEvE4typeEPKT_PS3_,"axG",@progbits,_Z18warp_reduce_kernelIdLj31ELj100EENSt9enable_ifIXsr15benchmark_utilsE35device_test_enabled_for_warp_size_vIXT0_EEEvE4typeEPKT_PS3_,comdat
.Lfunc_end16:
	.size	_Z18warp_reduce_kernelIdLj31ELj100EENSt9enable_ifIXsr15benchmark_utilsE35device_test_enabled_for_warp_size_vIXT0_EEEvE4typeEPKT_PS3_, .Lfunc_end16-_Z18warp_reduce_kernelIdLj31ELj100EENSt9enable_ifIXsr15benchmark_utilsE35device_test_enabled_for_warp_size_vIXT0_EEEvE4typeEPKT_PS3_
                                        ; -- End function
	.set _Z18warp_reduce_kernelIdLj31ELj100EENSt9enable_ifIXsr15benchmark_utilsE35device_test_enabled_for_warp_size_vIXT0_EEEvE4typeEPKT_PS3_.num_vgpr, 9
	.set _Z18warp_reduce_kernelIdLj31ELj100EENSt9enable_ifIXsr15benchmark_utilsE35device_test_enabled_for_warp_size_vIXT0_EEEvE4typeEPKT_PS3_.num_agpr, 0
	.set _Z18warp_reduce_kernelIdLj31ELj100EENSt9enable_ifIXsr15benchmark_utilsE35device_test_enabled_for_warp_size_vIXT0_EEEvE4typeEPKT_PS3_.numbered_sgpr, 13
	.set _Z18warp_reduce_kernelIdLj31ELj100EENSt9enable_ifIXsr15benchmark_utilsE35device_test_enabled_for_warp_size_vIXT0_EEEvE4typeEPKT_PS3_.num_named_barrier, 0
	.set _Z18warp_reduce_kernelIdLj31ELj100EENSt9enable_ifIXsr15benchmark_utilsE35device_test_enabled_for_warp_size_vIXT0_EEEvE4typeEPKT_PS3_.private_seg_size, 0
	.set _Z18warp_reduce_kernelIdLj31ELj100EENSt9enable_ifIXsr15benchmark_utilsE35device_test_enabled_for_warp_size_vIXT0_EEEvE4typeEPKT_PS3_.uses_vcc, 1
	.set _Z18warp_reduce_kernelIdLj31ELj100EENSt9enable_ifIXsr15benchmark_utilsE35device_test_enabled_for_warp_size_vIXT0_EEEvE4typeEPKT_PS3_.uses_flat_scratch, 0
	.set _Z18warp_reduce_kernelIdLj31ELj100EENSt9enable_ifIXsr15benchmark_utilsE35device_test_enabled_for_warp_size_vIXT0_EEEvE4typeEPKT_PS3_.has_dyn_sized_stack, 0
	.set _Z18warp_reduce_kernelIdLj31ELj100EENSt9enable_ifIXsr15benchmark_utilsE35device_test_enabled_for_warp_size_vIXT0_EEEvE4typeEPKT_PS3_.has_recursion, 0
	.set _Z18warp_reduce_kernelIdLj31ELj100EENSt9enable_ifIXsr15benchmark_utilsE35device_test_enabled_for_warp_size_vIXT0_EEEvE4typeEPKT_PS3_.has_indirect_call, 0
	.section	.AMDGPU.csdata,"",@progbits
; Kernel info:
; codeLenInByte = 452
; TotalNumSgprs: 17
; NumVgprs: 9
; ScratchSize: 0
; MemoryBound: 0
; FloatMode: 240
; IeeeMode: 1
; LDSByteSize: 248 bytes/workgroup (compile time only)
; SGPRBlocks: 2
; VGPRBlocks: 2
; NumSGPRsForWavesPerEU: 17
; NumVGPRsForWavesPerEU: 9
; Occupancy: 10
; WaveLimiterHint : 0
; COMPUTE_PGM_RSRC2:SCRATCH_EN: 0
; COMPUTE_PGM_RSRC2:USER_SGPR: 6
; COMPUTE_PGM_RSRC2:TRAP_HANDLER: 0
; COMPUTE_PGM_RSRC2:TGID_X_EN: 1
; COMPUTE_PGM_RSRC2:TGID_Y_EN: 0
; COMPUTE_PGM_RSRC2:TGID_Z_EN: 0
; COMPUTE_PGM_RSRC2:TIDIG_COMP_CNT: 0
	.section	.text._Z18warp_reduce_kernelIdLj32ELj100EENSt9enable_ifIXsr15benchmark_utilsE35device_test_enabled_for_warp_size_vIXT0_EEEvE4typeEPKT_PS3_,"axG",@progbits,_Z18warp_reduce_kernelIdLj32ELj100EENSt9enable_ifIXsr15benchmark_utilsE35device_test_enabled_for_warp_size_vIXT0_EEEvE4typeEPKT_PS3_,comdat
	.protected	_Z18warp_reduce_kernelIdLj32ELj100EENSt9enable_ifIXsr15benchmark_utilsE35device_test_enabled_for_warp_size_vIXT0_EEEvE4typeEPKT_PS3_ ; -- Begin function _Z18warp_reduce_kernelIdLj32ELj100EENSt9enable_ifIXsr15benchmark_utilsE35device_test_enabled_for_warp_size_vIXT0_EEEvE4typeEPKT_PS3_
	.globl	_Z18warp_reduce_kernelIdLj32ELj100EENSt9enable_ifIXsr15benchmark_utilsE35device_test_enabled_for_warp_size_vIXT0_EEEvE4typeEPKT_PS3_
	.p2align	8
	.type	_Z18warp_reduce_kernelIdLj32ELj100EENSt9enable_ifIXsr15benchmark_utilsE35device_test_enabled_for_warp_size_vIXT0_EEEvE4typeEPKT_PS3_,@function
_Z18warp_reduce_kernelIdLj32ELj100EENSt9enable_ifIXsr15benchmark_utilsE35device_test_enabled_for_warp_size_vIXT0_EEEvE4typeEPKT_PS3_: ; @_Z18warp_reduce_kernelIdLj32ELj100EENSt9enable_ifIXsr15benchmark_utilsE35device_test_enabled_for_warp_size_vIXT0_EEEvE4typeEPKT_PS3_
; %bb.0:
	s_load_dword s7, s[4:5], 0x1c
	s_load_dwordx4 s[0:3], s[4:5], 0x0
	v_mov_b32_e32 v1, 0
	v_mbcnt_lo_u32_b32 v4, -1, 0
	v_mbcnt_hi_u32_b32 v8, -1, v4
	s_waitcnt lgkmcnt(0)
	s_and_b32 s4, s7, 0xffff
	s_mul_i32 s6, s6, s4
	v_add_u32_e32 v0, s6, v0
	v_lshlrev_b64 v[0:1], 3, v[0:1]
	v_mov_b32_e32 v3, s1
	v_add_co_u32_e32 v2, vcc, s0, v0
	v_addc_co_u32_e32 v3, vcc, v3, v1, vcc
	global_load_dwordx2 v[2:3], v[2:3], off
	v_and_b32_e32 v7, 31, v8
	v_cmp_ne_u32_e32 vcc, 31, v7
	v_addc_co_u32_e32 v4, vcc, 0, v8, vcc
	v_cmp_gt_u32_e32 vcc, 30, v7
	v_cndmask_b32_e64 v5, 0, 2, vcc
	v_cmp_gt_u32_e32 vcc, 28, v7
	v_cndmask_b32_e64 v6, 0, 4, vcc
	;; [unrolled: 2-line block ×3, first 2 shown]
	v_lshlrev_b32_e32 v4, 2, v4
	v_add_lshl_u32 v5, v5, v8, 2
	v_add_lshl_u32 v6, v6, v8, 2
	;; [unrolled: 1-line block ×3, first 2 shown]
	v_lshl_or_b32 v8, v8, 2, 64
	s_movk_i32 s0, 0x64
.LBB17_1:                               ; =>This Inner Loop Header: Depth=1
	s_waitcnt vmcnt(0)
	ds_bpermute_b32 v9, v4, v2
	ds_bpermute_b32 v10, v4, v3
	s_add_i32 s0, s0, -1
	s_cmp_eq_u32 s0, 0
	s_waitcnt lgkmcnt(0)
	v_add_f64 v[2:3], v[2:3], v[9:10]
	ds_bpermute_b32 v9, v5, v2
	ds_bpermute_b32 v10, v5, v3
	s_waitcnt lgkmcnt(0)
	v_add_f64 v[2:3], v[2:3], v[9:10]
	ds_bpermute_b32 v9, v6, v2
	ds_bpermute_b32 v10, v6, v3
	;; [unrolled: 4-line block ×4, first 2 shown]
	s_waitcnt lgkmcnt(0)
	v_add_f64 v[2:3], v[2:3], v[9:10]
	s_cbranch_scc0 .LBB17_1
; %bb.2:
	v_mov_b32_e32 v4, s3
	v_add_co_u32_e32 v0, vcc, s2, v0
	v_addc_co_u32_e32 v1, vcc, v4, v1, vcc
	global_store_dwordx2 v[0:1], v[2:3], off
	s_endpgm
	.section	.rodata,"a",@progbits
	.p2align	6, 0x0
	.amdhsa_kernel _Z18warp_reduce_kernelIdLj32ELj100EENSt9enable_ifIXsr15benchmark_utilsE35device_test_enabled_for_warp_size_vIXT0_EEEvE4typeEPKT_PS3_
		.amdhsa_group_segment_fixed_size 0
		.amdhsa_private_segment_fixed_size 0
		.amdhsa_kernarg_size 272
		.amdhsa_user_sgpr_count 6
		.amdhsa_user_sgpr_private_segment_buffer 1
		.amdhsa_user_sgpr_dispatch_ptr 0
		.amdhsa_user_sgpr_queue_ptr 0
		.amdhsa_user_sgpr_kernarg_segment_ptr 1
		.amdhsa_user_sgpr_dispatch_id 0
		.amdhsa_user_sgpr_flat_scratch_init 0
		.amdhsa_user_sgpr_private_segment_size 0
		.amdhsa_uses_dynamic_stack 0
		.amdhsa_system_sgpr_private_segment_wavefront_offset 0
		.amdhsa_system_sgpr_workgroup_id_x 1
		.amdhsa_system_sgpr_workgroup_id_y 0
		.amdhsa_system_sgpr_workgroup_id_z 0
		.amdhsa_system_sgpr_workgroup_info 0
		.amdhsa_system_vgpr_workitem_id 0
		.amdhsa_next_free_vgpr 11
		.amdhsa_next_free_sgpr 8
		.amdhsa_reserve_vcc 1
		.amdhsa_reserve_flat_scratch 0
		.amdhsa_float_round_mode_32 0
		.amdhsa_float_round_mode_16_64 0
		.amdhsa_float_denorm_mode_32 3
		.amdhsa_float_denorm_mode_16_64 3
		.amdhsa_dx10_clamp 1
		.amdhsa_ieee_mode 1
		.amdhsa_fp16_overflow 0
		.amdhsa_exception_fp_ieee_invalid_op 0
		.amdhsa_exception_fp_denorm_src 0
		.amdhsa_exception_fp_ieee_div_zero 0
		.amdhsa_exception_fp_ieee_overflow 0
		.amdhsa_exception_fp_ieee_underflow 0
		.amdhsa_exception_fp_ieee_inexact 0
		.amdhsa_exception_int_div_zero 0
	.end_amdhsa_kernel
	.section	.text._Z18warp_reduce_kernelIdLj32ELj100EENSt9enable_ifIXsr15benchmark_utilsE35device_test_enabled_for_warp_size_vIXT0_EEEvE4typeEPKT_PS3_,"axG",@progbits,_Z18warp_reduce_kernelIdLj32ELj100EENSt9enable_ifIXsr15benchmark_utilsE35device_test_enabled_for_warp_size_vIXT0_EEEvE4typeEPKT_PS3_,comdat
.Lfunc_end17:
	.size	_Z18warp_reduce_kernelIdLj32ELj100EENSt9enable_ifIXsr15benchmark_utilsE35device_test_enabled_for_warp_size_vIXT0_EEEvE4typeEPKT_PS3_, .Lfunc_end17-_Z18warp_reduce_kernelIdLj32ELj100EENSt9enable_ifIXsr15benchmark_utilsE35device_test_enabled_for_warp_size_vIXT0_EEEvE4typeEPKT_PS3_
                                        ; -- End function
	.set _Z18warp_reduce_kernelIdLj32ELj100EENSt9enable_ifIXsr15benchmark_utilsE35device_test_enabled_for_warp_size_vIXT0_EEEvE4typeEPKT_PS3_.num_vgpr, 11
	.set _Z18warp_reduce_kernelIdLj32ELj100EENSt9enable_ifIXsr15benchmark_utilsE35device_test_enabled_for_warp_size_vIXT0_EEEvE4typeEPKT_PS3_.num_agpr, 0
	.set _Z18warp_reduce_kernelIdLj32ELj100EENSt9enable_ifIXsr15benchmark_utilsE35device_test_enabled_for_warp_size_vIXT0_EEEvE4typeEPKT_PS3_.numbered_sgpr, 8
	.set _Z18warp_reduce_kernelIdLj32ELj100EENSt9enable_ifIXsr15benchmark_utilsE35device_test_enabled_for_warp_size_vIXT0_EEEvE4typeEPKT_PS3_.num_named_barrier, 0
	.set _Z18warp_reduce_kernelIdLj32ELj100EENSt9enable_ifIXsr15benchmark_utilsE35device_test_enabled_for_warp_size_vIXT0_EEEvE4typeEPKT_PS3_.private_seg_size, 0
	.set _Z18warp_reduce_kernelIdLj32ELj100EENSt9enable_ifIXsr15benchmark_utilsE35device_test_enabled_for_warp_size_vIXT0_EEEvE4typeEPKT_PS3_.uses_vcc, 1
	.set _Z18warp_reduce_kernelIdLj32ELj100EENSt9enable_ifIXsr15benchmark_utilsE35device_test_enabled_for_warp_size_vIXT0_EEEvE4typeEPKT_PS3_.uses_flat_scratch, 0
	.set _Z18warp_reduce_kernelIdLj32ELj100EENSt9enable_ifIXsr15benchmark_utilsE35device_test_enabled_for_warp_size_vIXT0_EEEvE4typeEPKT_PS3_.has_dyn_sized_stack, 0
	.set _Z18warp_reduce_kernelIdLj32ELj100EENSt9enable_ifIXsr15benchmark_utilsE35device_test_enabled_for_warp_size_vIXT0_EEEvE4typeEPKT_PS3_.has_recursion, 0
	.set _Z18warp_reduce_kernelIdLj32ELj100EENSt9enable_ifIXsr15benchmark_utilsE35device_test_enabled_for_warp_size_vIXT0_EEEvE4typeEPKT_PS3_.has_indirect_call, 0
	.section	.AMDGPU.csdata,"",@progbits
; Kernel info:
; codeLenInByte = 352
; TotalNumSgprs: 12
; NumVgprs: 11
; ScratchSize: 0
; MemoryBound: 0
; FloatMode: 240
; IeeeMode: 1
; LDSByteSize: 0 bytes/workgroup (compile time only)
; SGPRBlocks: 1
; VGPRBlocks: 2
; NumSGPRsForWavesPerEU: 12
; NumVGPRsForWavesPerEU: 11
; Occupancy: 10
; WaveLimiterHint : 0
; COMPUTE_PGM_RSRC2:SCRATCH_EN: 0
; COMPUTE_PGM_RSRC2:USER_SGPR: 6
; COMPUTE_PGM_RSRC2:TRAP_HANDLER: 0
; COMPUTE_PGM_RSRC2:TGID_X_EN: 1
; COMPUTE_PGM_RSRC2:TGID_Y_EN: 0
; COMPUTE_PGM_RSRC2:TGID_Z_EN: 0
; COMPUTE_PGM_RSRC2:TIDIG_COMP_CNT: 0
	.section	.text._Z18warp_reduce_kernelIdLj37ELj100EENSt9enable_ifIXsr15benchmark_utilsE35device_test_enabled_for_warp_size_vIXT0_EEEvE4typeEPKT_PS3_,"axG",@progbits,_Z18warp_reduce_kernelIdLj37ELj100EENSt9enable_ifIXsr15benchmark_utilsE35device_test_enabled_for_warp_size_vIXT0_EEEvE4typeEPKT_PS3_,comdat
	.protected	_Z18warp_reduce_kernelIdLj37ELj100EENSt9enable_ifIXsr15benchmark_utilsE35device_test_enabled_for_warp_size_vIXT0_EEEvE4typeEPKT_PS3_ ; -- Begin function _Z18warp_reduce_kernelIdLj37ELj100EENSt9enable_ifIXsr15benchmark_utilsE35device_test_enabled_for_warp_size_vIXT0_EEEvE4typeEPKT_PS3_
	.globl	_Z18warp_reduce_kernelIdLj37ELj100EENSt9enable_ifIXsr15benchmark_utilsE35device_test_enabled_for_warp_size_vIXT0_EEEvE4typeEPKT_PS3_
	.p2align	8
	.type	_Z18warp_reduce_kernelIdLj37ELj100EENSt9enable_ifIXsr15benchmark_utilsE35device_test_enabled_for_warp_size_vIXT0_EEEvE4typeEPKT_PS3_,@function
_Z18warp_reduce_kernelIdLj37ELj100EENSt9enable_ifIXsr15benchmark_utilsE35device_test_enabled_for_warp_size_vIXT0_EEEvE4typeEPKT_PS3_: ; @_Z18warp_reduce_kernelIdLj37ELj100EENSt9enable_ifIXsr15benchmark_utilsE35device_test_enabled_for_warp_size_vIXT0_EEEvE4typeEPKT_PS3_
; %bb.0:
	s_load_dword s0, s[4:5], 0x1c
	s_load_dwordx4 s[8:11], s[4:5], 0x0
	v_mov_b32_e32 v1, 0
	v_mbcnt_lo_u32_b32 v4, -1, 0
	v_mbcnt_hi_u32_b32 v4, -1, v4
	s_waitcnt lgkmcnt(0)
	s_and_b32 s0, s0, 0xffff
	s_mul_i32 s6, s6, s0
	v_add_u32_e32 v0, s6, v0
	v_lshlrev_b64 v[0:1], 3, v[0:1]
	v_mov_b32_e32 v3, s9
	v_add_co_u32_e32 v2, vcc, s8, v0
	v_addc_co_u32_e32 v3, vcc, v3, v1, vcc
	global_load_dwordx2 v[2:3], v[2:3], off
	s_mov_b32 s0, 0x6eb3e46
	v_mul_hi_u32 v5, v4, s0
	s_movk_i32 s14, 0x64
	v_mul_u32_u24_e32 v5, 37, v5
	v_sub_u32_e32 v5, v4, v5
	v_lshlrev_b32_e32 v4, 3, v5
	v_cmp_gt_u32_e32 vcc, 5, v5
	v_cmp_gt_u32_e64 s[0:1], 16, v5
	v_cmp_gt_u32_e64 s[2:3], 8, v5
	;; [unrolled: 1-line block ×4, first 2 shown]
	v_cmp_eq_u32_e64 s[8:9], 0, v5
	s_branch .LBB18_2
.LBB18_1:                               ;   in Loop: Header=BB18_2 Depth=1
	s_or_b64 exec, exec, s[12:13]
	s_add_i32 s14, s14, -1
	s_cmp_eq_u32 s14, 0
	; wave barrier
	s_cbranch_scc1 .LBB18_26
.LBB18_2:                               ; =>This Inner Loop Header: Depth=1
	s_waitcnt vmcnt(0)
	ds_write_b64 v4, v[2:3]
	; wave barrier
	s_and_saveexec_b64 s[12:13], vcc
	s_cbranch_execz .LBB18_4
; %bb.3:                                ;   in Loop: Header=BB18_2 Depth=1
	ds_read2_b64 v[5:8], v4 offset1:32
	s_waitcnt lgkmcnt(0)
	v_add_f64 v[2:3], v[5:6], v[7:8]
.LBB18_4:                               ;   in Loop: Header=BB18_2 Depth=1
	s_or_b64 exec, exec, s[12:13]
	; wave barrier
	s_and_saveexec_b64 s[12:13], vcc
; %bb.5:                                ;   in Loop: Header=BB18_2 Depth=1
	ds_write_b64 v4, v[2:3]
; %bb.6:                                ;   in Loop: Header=BB18_2 Depth=1
	s_or_b64 exec, exec, s[12:13]
	; wave barrier
	s_and_saveexec_b64 s[12:13], s[0:1]
	s_cbranch_execz .LBB18_8
; %bb.7:                                ;   in Loop: Header=BB18_2 Depth=1
	ds_read2_b64 v[5:8], v4 offset1:16
	s_waitcnt lgkmcnt(0)
	v_add_f64 v[2:3], v[5:6], v[7:8]
.LBB18_8:                               ;   in Loop: Header=BB18_2 Depth=1
	s_or_b64 exec, exec, s[12:13]
	; wave barrier
	s_and_saveexec_b64 s[12:13], s[0:1]
; %bb.9:                                ;   in Loop: Header=BB18_2 Depth=1
	ds_write_b64 v4, v[2:3]
; %bb.10:                               ;   in Loop: Header=BB18_2 Depth=1
	s_or_b64 exec, exec, s[12:13]
	; wave barrier
	s_and_saveexec_b64 s[12:13], s[2:3]
	s_cbranch_execz .LBB18_12
; %bb.11:                               ;   in Loop: Header=BB18_2 Depth=1
	ds_read2_b64 v[5:8], v4 offset1:8
	s_waitcnt lgkmcnt(0)
	v_add_f64 v[2:3], v[5:6], v[7:8]
.LBB18_12:                              ;   in Loop: Header=BB18_2 Depth=1
	s_or_b64 exec, exec, s[12:13]
	; wave barrier
	s_and_saveexec_b64 s[12:13], s[2:3]
; %bb.13:                               ;   in Loop: Header=BB18_2 Depth=1
	ds_write_b64 v4, v[2:3]
; %bb.14:                               ;   in Loop: Header=BB18_2 Depth=1
	s_or_b64 exec, exec, s[12:13]
	; wave barrier
	s_and_saveexec_b64 s[12:13], s[4:5]
	s_cbranch_execz .LBB18_16
; %bb.15:                               ;   in Loop: Header=BB18_2 Depth=1
	ds_read2_b64 v[5:8], v4 offset1:4
	s_waitcnt lgkmcnt(0)
	v_add_f64 v[2:3], v[5:6], v[7:8]
.LBB18_16:                              ;   in Loop: Header=BB18_2 Depth=1
	s_or_b64 exec, exec, s[12:13]
	; wave barrier
	s_and_saveexec_b64 s[12:13], s[4:5]
; %bb.17:                               ;   in Loop: Header=BB18_2 Depth=1
	;; [unrolled: 15-line block ×3, first 2 shown]
	ds_write_b64 v4, v[2:3]
; %bb.22:                               ;   in Loop: Header=BB18_2 Depth=1
	s_or_b64 exec, exec, s[12:13]
	; wave barrier
	s_and_saveexec_b64 s[12:13], s[8:9]
	s_cbranch_execz .LBB18_24
; %bb.23:                               ;   in Loop: Header=BB18_2 Depth=1
	ds_read2_b64 v[5:8], v4 offset1:1
	s_waitcnt lgkmcnt(0)
	v_add_f64 v[2:3], v[5:6], v[7:8]
.LBB18_24:                              ;   in Loop: Header=BB18_2 Depth=1
	s_or_b64 exec, exec, s[12:13]
	; wave barrier
	s_and_saveexec_b64 s[12:13], s[8:9]
	s_cbranch_execz .LBB18_1
; %bb.25:                               ;   in Loop: Header=BB18_2 Depth=1
	ds_write_b64 v4, v[2:3]
	s_branch .LBB18_1
.LBB18_26:
	v_mov_b32_e32 v4, s11
	v_add_co_u32_e32 v0, vcc, s10, v0
	v_addc_co_u32_e32 v1, vcc, v4, v1, vcc
	global_store_dwordx2 v[0:1], v[2:3], off
	s_endpgm
	.section	.rodata,"a",@progbits
	.p2align	6, 0x0
	.amdhsa_kernel _Z18warp_reduce_kernelIdLj37ELj100EENSt9enable_ifIXsr15benchmark_utilsE35device_test_enabled_for_warp_size_vIXT0_EEEvE4typeEPKT_PS3_
		.amdhsa_group_segment_fixed_size 296
		.amdhsa_private_segment_fixed_size 0
		.amdhsa_kernarg_size 272
		.amdhsa_user_sgpr_count 6
		.amdhsa_user_sgpr_private_segment_buffer 1
		.amdhsa_user_sgpr_dispatch_ptr 0
		.amdhsa_user_sgpr_queue_ptr 0
		.amdhsa_user_sgpr_kernarg_segment_ptr 1
		.amdhsa_user_sgpr_dispatch_id 0
		.amdhsa_user_sgpr_flat_scratch_init 0
		.amdhsa_user_sgpr_private_segment_size 0
		.amdhsa_uses_dynamic_stack 0
		.amdhsa_system_sgpr_private_segment_wavefront_offset 0
		.amdhsa_system_sgpr_workgroup_id_x 1
		.amdhsa_system_sgpr_workgroup_id_y 0
		.amdhsa_system_sgpr_workgroup_id_z 0
		.amdhsa_system_sgpr_workgroup_info 0
		.amdhsa_system_vgpr_workitem_id 0
		.amdhsa_next_free_vgpr 9
		.amdhsa_next_free_sgpr 15
		.amdhsa_reserve_vcc 1
		.amdhsa_reserve_flat_scratch 0
		.amdhsa_float_round_mode_32 0
		.amdhsa_float_round_mode_16_64 0
		.amdhsa_float_denorm_mode_32 3
		.amdhsa_float_denorm_mode_16_64 3
		.amdhsa_dx10_clamp 1
		.amdhsa_ieee_mode 1
		.amdhsa_fp16_overflow 0
		.amdhsa_exception_fp_ieee_invalid_op 0
		.amdhsa_exception_fp_denorm_src 0
		.amdhsa_exception_fp_ieee_div_zero 0
		.amdhsa_exception_fp_ieee_overflow 0
		.amdhsa_exception_fp_ieee_underflow 0
		.amdhsa_exception_fp_ieee_inexact 0
		.amdhsa_exception_int_div_zero 0
	.end_amdhsa_kernel
	.section	.text._Z18warp_reduce_kernelIdLj37ELj100EENSt9enable_ifIXsr15benchmark_utilsE35device_test_enabled_for_warp_size_vIXT0_EEEvE4typeEPKT_PS3_,"axG",@progbits,_Z18warp_reduce_kernelIdLj37ELj100EENSt9enable_ifIXsr15benchmark_utilsE35device_test_enabled_for_warp_size_vIXT0_EEEvE4typeEPKT_PS3_,comdat
.Lfunc_end18:
	.size	_Z18warp_reduce_kernelIdLj37ELj100EENSt9enable_ifIXsr15benchmark_utilsE35device_test_enabled_for_warp_size_vIXT0_EEEvE4typeEPKT_PS3_, .Lfunc_end18-_Z18warp_reduce_kernelIdLj37ELj100EENSt9enable_ifIXsr15benchmark_utilsE35device_test_enabled_for_warp_size_vIXT0_EEEvE4typeEPKT_PS3_
                                        ; -- End function
	.set _Z18warp_reduce_kernelIdLj37ELj100EENSt9enable_ifIXsr15benchmark_utilsE35device_test_enabled_for_warp_size_vIXT0_EEEvE4typeEPKT_PS3_.num_vgpr, 9
	.set _Z18warp_reduce_kernelIdLj37ELj100EENSt9enable_ifIXsr15benchmark_utilsE35device_test_enabled_for_warp_size_vIXT0_EEEvE4typeEPKT_PS3_.num_agpr, 0
	.set _Z18warp_reduce_kernelIdLj37ELj100EENSt9enable_ifIXsr15benchmark_utilsE35device_test_enabled_for_warp_size_vIXT0_EEEvE4typeEPKT_PS3_.numbered_sgpr, 15
	.set _Z18warp_reduce_kernelIdLj37ELj100EENSt9enable_ifIXsr15benchmark_utilsE35device_test_enabled_for_warp_size_vIXT0_EEEvE4typeEPKT_PS3_.num_named_barrier, 0
	.set _Z18warp_reduce_kernelIdLj37ELj100EENSt9enable_ifIXsr15benchmark_utilsE35device_test_enabled_for_warp_size_vIXT0_EEEvE4typeEPKT_PS3_.private_seg_size, 0
	.set _Z18warp_reduce_kernelIdLj37ELj100EENSt9enable_ifIXsr15benchmark_utilsE35device_test_enabled_for_warp_size_vIXT0_EEEvE4typeEPKT_PS3_.uses_vcc, 1
	.set _Z18warp_reduce_kernelIdLj37ELj100EENSt9enable_ifIXsr15benchmark_utilsE35device_test_enabled_for_warp_size_vIXT0_EEEvE4typeEPKT_PS3_.uses_flat_scratch, 0
	.set _Z18warp_reduce_kernelIdLj37ELj100EENSt9enable_ifIXsr15benchmark_utilsE35device_test_enabled_for_warp_size_vIXT0_EEEvE4typeEPKT_PS3_.has_dyn_sized_stack, 0
	.set _Z18warp_reduce_kernelIdLj37ELj100EENSt9enable_ifIXsr15benchmark_utilsE35device_test_enabled_for_warp_size_vIXT0_EEEvE4typeEPKT_PS3_.has_recursion, 0
	.set _Z18warp_reduce_kernelIdLj37ELj100EENSt9enable_ifIXsr15benchmark_utilsE35device_test_enabled_for_warp_size_vIXT0_EEEvE4typeEPKT_PS3_.has_indirect_call, 0
	.section	.AMDGPU.csdata,"",@progbits
; Kernel info:
; codeLenInByte = 508
; TotalNumSgprs: 19
; NumVgprs: 9
; ScratchSize: 0
; MemoryBound: 0
; FloatMode: 240
; IeeeMode: 1
; LDSByteSize: 296 bytes/workgroup (compile time only)
; SGPRBlocks: 2
; VGPRBlocks: 2
; NumSGPRsForWavesPerEU: 19
; NumVGPRsForWavesPerEU: 9
; Occupancy: 10
; WaveLimiterHint : 0
; COMPUTE_PGM_RSRC2:SCRATCH_EN: 0
; COMPUTE_PGM_RSRC2:USER_SGPR: 6
; COMPUTE_PGM_RSRC2:TRAP_HANDLER: 0
; COMPUTE_PGM_RSRC2:TGID_X_EN: 1
; COMPUTE_PGM_RSRC2:TGID_Y_EN: 0
; COMPUTE_PGM_RSRC2:TGID_Z_EN: 0
; COMPUTE_PGM_RSRC2:TIDIG_COMP_CNT: 0
	.section	.text._Z18warp_reduce_kernelIdLj61ELj100EENSt9enable_ifIXsr15benchmark_utilsE35device_test_enabled_for_warp_size_vIXT0_EEEvE4typeEPKT_PS3_,"axG",@progbits,_Z18warp_reduce_kernelIdLj61ELj100EENSt9enable_ifIXsr15benchmark_utilsE35device_test_enabled_for_warp_size_vIXT0_EEEvE4typeEPKT_PS3_,comdat
	.protected	_Z18warp_reduce_kernelIdLj61ELj100EENSt9enable_ifIXsr15benchmark_utilsE35device_test_enabled_for_warp_size_vIXT0_EEEvE4typeEPKT_PS3_ ; -- Begin function _Z18warp_reduce_kernelIdLj61ELj100EENSt9enable_ifIXsr15benchmark_utilsE35device_test_enabled_for_warp_size_vIXT0_EEEvE4typeEPKT_PS3_
	.globl	_Z18warp_reduce_kernelIdLj61ELj100EENSt9enable_ifIXsr15benchmark_utilsE35device_test_enabled_for_warp_size_vIXT0_EEEvE4typeEPKT_PS3_
	.p2align	8
	.type	_Z18warp_reduce_kernelIdLj61ELj100EENSt9enable_ifIXsr15benchmark_utilsE35device_test_enabled_for_warp_size_vIXT0_EEEvE4typeEPKT_PS3_,@function
_Z18warp_reduce_kernelIdLj61ELj100EENSt9enable_ifIXsr15benchmark_utilsE35device_test_enabled_for_warp_size_vIXT0_EEEvE4typeEPKT_PS3_: ; @_Z18warp_reduce_kernelIdLj61ELj100EENSt9enable_ifIXsr15benchmark_utilsE35device_test_enabled_for_warp_size_vIXT0_EEEvE4typeEPKT_PS3_
; %bb.0:
	s_load_dword s0, s[4:5], 0x1c
	s_load_dwordx4 s[8:11], s[4:5], 0x0
	v_mov_b32_e32 v1, 0
	v_mbcnt_lo_u32_b32 v4, -1, 0
	v_mbcnt_hi_u32_b32 v4, -1, v4
	s_waitcnt lgkmcnt(0)
	s_and_b32 s0, s0, 0xffff
	s_mul_i32 s6, s6, s0
	v_add_u32_e32 v0, s6, v0
	v_lshlrev_b64 v[0:1], 3, v[0:1]
	v_mov_b32_e32 v3, s9
	v_add_co_u32_e32 v2, vcc, s8, v0
	v_addc_co_u32_e32 v3, vcc, v3, v1, vcc
	global_load_dwordx2 v[2:3], v[2:3], off
	s_mov_b32 s0, 0x4325c54
	v_mul_hi_u32 v5, v4, s0
	s_movk_i32 s14, 0x64
	v_mul_u32_u24_e32 v5, 61, v5
	v_sub_u32_e32 v5, v4, v5
	v_lshlrev_b32_e32 v4, 3, v5
	v_cmp_gt_u32_e32 vcc, 29, v5
	v_cmp_gt_u32_e64 s[0:1], 16, v5
	v_cmp_gt_u32_e64 s[2:3], 8, v5
	;; [unrolled: 1-line block ×4, first 2 shown]
	v_cmp_eq_u32_e64 s[8:9], 0, v5
	s_branch .LBB19_2
.LBB19_1:                               ;   in Loop: Header=BB19_2 Depth=1
	s_or_b64 exec, exec, s[12:13]
	s_add_i32 s14, s14, -1
	s_cmp_eq_u32 s14, 0
	; wave barrier
	s_cbranch_scc1 .LBB19_26
.LBB19_2:                               ; =>This Inner Loop Header: Depth=1
	s_waitcnt vmcnt(0)
	ds_write_b64 v4, v[2:3]
	; wave barrier
	s_and_saveexec_b64 s[12:13], vcc
	s_cbranch_execz .LBB19_4
; %bb.3:                                ;   in Loop: Header=BB19_2 Depth=1
	ds_read2_b64 v[5:8], v4 offset1:32
	s_waitcnt lgkmcnt(0)
	v_add_f64 v[2:3], v[5:6], v[7:8]
.LBB19_4:                               ;   in Loop: Header=BB19_2 Depth=1
	s_or_b64 exec, exec, s[12:13]
	; wave barrier
	s_and_saveexec_b64 s[12:13], vcc
; %bb.5:                                ;   in Loop: Header=BB19_2 Depth=1
	ds_write_b64 v4, v[2:3]
; %bb.6:                                ;   in Loop: Header=BB19_2 Depth=1
	s_or_b64 exec, exec, s[12:13]
	; wave barrier
	s_and_saveexec_b64 s[12:13], s[0:1]
	s_cbranch_execz .LBB19_8
; %bb.7:                                ;   in Loop: Header=BB19_2 Depth=1
	ds_read2_b64 v[5:8], v4 offset1:16
	s_waitcnt lgkmcnt(0)
	v_add_f64 v[2:3], v[5:6], v[7:8]
.LBB19_8:                               ;   in Loop: Header=BB19_2 Depth=1
	s_or_b64 exec, exec, s[12:13]
	; wave barrier
	s_and_saveexec_b64 s[12:13], s[0:1]
; %bb.9:                                ;   in Loop: Header=BB19_2 Depth=1
	ds_write_b64 v4, v[2:3]
; %bb.10:                               ;   in Loop: Header=BB19_2 Depth=1
	s_or_b64 exec, exec, s[12:13]
	; wave barrier
	s_and_saveexec_b64 s[12:13], s[2:3]
	s_cbranch_execz .LBB19_12
; %bb.11:                               ;   in Loop: Header=BB19_2 Depth=1
	ds_read2_b64 v[5:8], v4 offset1:8
	s_waitcnt lgkmcnt(0)
	v_add_f64 v[2:3], v[5:6], v[7:8]
.LBB19_12:                              ;   in Loop: Header=BB19_2 Depth=1
	s_or_b64 exec, exec, s[12:13]
	; wave barrier
	s_and_saveexec_b64 s[12:13], s[2:3]
; %bb.13:                               ;   in Loop: Header=BB19_2 Depth=1
	ds_write_b64 v4, v[2:3]
; %bb.14:                               ;   in Loop: Header=BB19_2 Depth=1
	s_or_b64 exec, exec, s[12:13]
	; wave barrier
	s_and_saveexec_b64 s[12:13], s[4:5]
	s_cbranch_execz .LBB19_16
; %bb.15:                               ;   in Loop: Header=BB19_2 Depth=1
	ds_read2_b64 v[5:8], v4 offset1:4
	s_waitcnt lgkmcnt(0)
	v_add_f64 v[2:3], v[5:6], v[7:8]
.LBB19_16:                              ;   in Loop: Header=BB19_2 Depth=1
	s_or_b64 exec, exec, s[12:13]
	; wave barrier
	s_and_saveexec_b64 s[12:13], s[4:5]
; %bb.17:                               ;   in Loop: Header=BB19_2 Depth=1
	;; [unrolled: 15-line block ×3, first 2 shown]
	ds_write_b64 v4, v[2:3]
; %bb.22:                               ;   in Loop: Header=BB19_2 Depth=1
	s_or_b64 exec, exec, s[12:13]
	; wave barrier
	s_and_saveexec_b64 s[12:13], s[8:9]
	s_cbranch_execz .LBB19_24
; %bb.23:                               ;   in Loop: Header=BB19_2 Depth=1
	ds_read2_b64 v[5:8], v4 offset1:1
	s_waitcnt lgkmcnt(0)
	v_add_f64 v[2:3], v[5:6], v[7:8]
.LBB19_24:                              ;   in Loop: Header=BB19_2 Depth=1
	s_or_b64 exec, exec, s[12:13]
	; wave barrier
	s_and_saveexec_b64 s[12:13], s[8:9]
	s_cbranch_execz .LBB19_1
; %bb.25:                               ;   in Loop: Header=BB19_2 Depth=1
	ds_write_b64 v4, v[2:3]
	s_branch .LBB19_1
.LBB19_26:
	v_mov_b32_e32 v4, s11
	v_add_co_u32_e32 v0, vcc, s10, v0
	v_addc_co_u32_e32 v1, vcc, v4, v1, vcc
	global_store_dwordx2 v[0:1], v[2:3], off
	s_endpgm
	.section	.rodata,"a",@progbits
	.p2align	6, 0x0
	.amdhsa_kernel _Z18warp_reduce_kernelIdLj61ELj100EENSt9enable_ifIXsr15benchmark_utilsE35device_test_enabled_for_warp_size_vIXT0_EEEvE4typeEPKT_PS3_
		.amdhsa_group_segment_fixed_size 488
		.amdhsa_private_segment_fixed_size 0
		.amdhsa_kernarg_size 272
		.amdhsa_user_sgpr_count 6
		.amdhsa_user_sgpr_private_segment_buffer 1
		.amdhsa_user_sgpr_dispatch_ptr 0
		.amdhsa_user_sgpr_queue_ptr 0
		.amdhsa_user_sgpr_kernarg_segment_ptr 1
		.amdhsa_user_sgpr_dispatch_id 0
		.amdhsa_user_sgpr_flat_scratch_init 0
		.amdhsa_user_sgpr_private_segment_size 0
		.amdhsa_uses_dynamic_stack 0
		.amdhsa_system_sgpr_private_segment_wavefront_offset 0
		.amdhsa_system_sgpr_workgroup_id_x 1
		.amdhsa_system_sgpr_workgroup_id_y 0
		.amdhsa_system_sgpr_workgroup_id_z 0
		.amdhsa_system_sgpr_workgroup_info 0
		.amdhsa_system_vgpr_workitem_id 0
		.amdhsa_next_free_vgpr 9
		.amdhsa_next_free_sgpr 15
		.amdhsa_reserve_vcc 1
		.amdhsa_reserve_flat_scratch 0
		.amdhsa_float_round_mode_32 0
		.amdhsa_float_round_mode_16_64 0
		.amdhsa_float_denorm_mode_32 3
		.amdhsa_float_denorm_mode_16_64 3
		.amdhsa_dx10_clamp 1
		.amdhsa_ieee_mode 1
		.amdhsa_fp16_overflow 0
		.amdhsa_exception_fp_ieee_invalid_op 0
		.amdhsa_exception_fp_denorm_src 0
		.amdhsa_exception_fp_ieee_div_zero 0
		.amdhsa_exception_fp_ieee_overflow 0
		.amdhsa_exception_fp_ieee_underflow 0
		.amdhsa_exception_fp_ieee_inexact 0
		.amdhsa_exception_int_div_zero 0
	.end_amdhsa_kernel
	.section	.text._Z18warp_reduce_kernelIdLj61ELj100EENSt9enable_ifIXsr15benchmark_utilsE35device_test_enabled_for_warp_size_vIXT0_EEEvE4typeEPKT_PS3_,"axG",@progbits,_Z18warp_reduce_kernelIdLj61ELj100EENSt9enable_ifIXsr15benchmark_utilsE35device_test_enabled_for_warp_size_vIXT0_EEEvE4typeEPKT_PS3_,comdat
.Lfunc_end19:
	.size	_Z18warp_reduce_kernelIdLj61ELj100EENSt9enable_ifIXsr15benchmark_utilsE35device_test_enabled_for_warp_size_vIXT0_EEEvE4typeEPKT_PS3_, .Lfunc_end19-_Z18warp_reduce_kernelIdLj61ELj100EENSt9enable_ifIXsr15benchmark_utilsE35device_test_enabled_for_warp_size_vIXT0_EEEvE4typeEPKT_PS3_
                                        ; -- End function
	.set _Z18warp_reduce_kernelIdLj61ELj100EENSt9enable_ifIXsr15benchmark_utilsE35device_test_enabled_for_warp_size_vIXT0_EEEvE4typeEPKT_PS3_.num_vgpr, 9
	.set _Z18warp_reduce_kernelIdLj61ELj100EENSt9enable_ifIXsr15benchmark_utilsE35device_test_enabled_for_warp_size_vIXT0_EEEvE4typeEPKT_PS3_.num_agpr, 0
	.set _Z18warp_reduce_kernelIdLj61ELj100EENSt9enable_ifIXsr15benchmark_utilsE35device_test_enabled_for_warp_size_vIXT0_EEEvE4typeEPKT_PS3_.numbered_sgpr, 15
	.set _Z18warp_reduce_kernelIdLj61ELj100EENSt9enable_ifIXsr15benchmark_utilsE35device_test_enabled_for_warp_size_vIXT0_EEEvE4typeEPKT_PS3_.num_named_barrier, 0
	.set _Z18warp_reduce_kernelIdLj61ELj100EENSt9enable_ifIXsr15benchmark_utilsE35device_test_enabled_for_warp_size_vIXT0_EEEvE4typeEPKT_PS3_.private_seg_size, 0
	.set _Z18warp_reduce_kernelIdLj61ELj100EENSt9enable_ifIXsr15benchmark_utilsE35device_test_enabled_for_warp_size_vIXT0_EEEvE4typeEPKT_PS3_.uses_vcc, 1
	.set _Z18warp_reduce_kernelIdLj61ELj100EENSt9enable_ifIXsr15benchmark_utilsE35device_test_enabled_for_warp_size_vIXT0_EEEvE4typeEPKT_PS3_.uses_flat_scratch, 0
	.set _Z18warp_reduce_kernelIdLj61ELj100EENSt9enable_ifIXsr15benchmark_utilsE35device_test_enabled_for_warp_size_vIXT0_EEEvE4typeEPKT_PS3_.has_dyn_sized_stack, 0
	.set _Z18warp_reduce_kernelIdLj61ELj100EENSt9enable_ifIXsr15benchmark_utilsE35device_test_enabled_for_warp_size_vIXT0_EEEvE4typeEPKT_PS3_.has_recursion, 0
	.set _Z18warp_reduce_kernelIdLj61ELj100EENSt9enable_ifIXsr15benchmark_utilsE35device_test_enabled_for_warp_size_vIXT0_EEEvE4typeEPKT_PS3_.has_indirect_call, 0
	.section	.AMDGPU.csdata,"",@progbits
; Kernel info:
; codeLenInByte = 508
; TotalNumSgprs: 19
; NumVgprs: 9
; ScratchSize: 0
; MemoryBound: 0
; FloatMode: 240
; IeeeMode: 1
; LDSByteSize: 488 bytes/workgroup (compile time only)
; SGPRBlocks: 2
; VGPRBlocks: 2
; NumSGPRsForWavesPerEU: 19
; NumVGPRsForWavesPerEU: 9
; Occupancy: 10
; WaveLimiterHint : 0
; COMPUTE_PGM_RSRC2:SCRATCH_EN: 0
; COMPUTE_PGM_RSRC2:USER_SGPR: 6
; COMPUTE_PGM_RSRC2:TRAP_HANDLER: 0
; COMPUTE_PGM_RSRC2:TGID_X_EN: 1
; COMPUTE_PGM_RSRC2:TGID_Y_EN: 0
; COMPUTE_PGM_RSRC2:TGID_Z_EN: 0
; COMPUTE_PGM_RSRC2:TIDIG_COMP_CNT: 0
	.section	.text._Z18warp_reduce_kernelIdLj64ELj100EENSt9enable_ifIXsr15benchmark_utilsE35device_test_enabled_for_warp_size_vIXT0_EEEvE4typeEPKT_PS3_,"axG",@progbits,_Z18warp_reduce_kernelIdLj64ELj100EENSt9enable_ifIXsr15benchmark_utilsE35device_test_enabled_for_warp_size_vIXT0_EEEvE4typeEPKT_PS3_,comdat
	.protected	_Z18warp_reduce_kernelIdLj64ELj100EENSt9enable_ifIXsr15benchmark_utilsE35device_test_enabled_for_warp_size_vIXT0_EEEvE4typeEPKT_PS3_ ; -- Begin function _Z18warp_reduce_kernelIdLj64ELj100EENSt9enable_ifIXsr15benchmark_utilsE35device_test_enabled_for_warp_size_vIXT0_EEEvE4typeEPKT_PS3_
	.globl	_Z18warp_reduce_kernelIdLj64ELj100EENSt9enable_ifIXsr15benchmark_utilsE35device_test_enabled_for_warp_size_vIXT0_EEEvE4typeEPKT_PS3_
	.p2align	8
	.type	_Z18warp_reduce_kernelIdLj64ELj100EENSt9enable_ifIXsr15benchmark_utilsE35device_test_enabled_for_warp_size_vIXT0_EEEvE4typeEPKT_PS3_,@function
_Z18warp_reduce_kernelIdLj64ELj100EENSt9enable_ifIXsr15benchmark_utilsE35device_test_enabled_for_warp_size_vIXT0_EEEvE4typeEPKT_PS3_: ; @_Z18warp_reduce_kernelIdLj64ELj100EENSt9enable_ifIXsr15benchmark_utilsE35device_test_enabled_for_warp_size_vIXT0_EEEvE4typeEPKT_PS3_
; %bb.0:
	s_load_dword s7, s[4:5], 0x1c
	s_load_dwordx4 s[0:3], s[4:5], 0x0
	v_mov_b32_e32 v1, 0
	v_mbcnt_lo_u32_b32 v4, -1, 0
	v_mbcnt_hi_u32_b32 v4, -1, v4
	s_waitcnt lgkmcnt(0)
	s_and_b32 s4, s7, 0xffff
	s_mul_i32 s6, s6, s4
	v_add_u32_e32 v0, s6, v0
	v_lshlrev_b64 v[0:1], 3, v[0:1]
	v_mov_b32_e32 v3, s1
	v_add_co_u32_e32 v2, vcc, s0, v0
	v_addc_co_u32_e32 v3, vcc, v3, v1, vcc
	global_load_dwordx2 v[2:3], v[2:3], off
	v_bfrev_b32_e32 v5, 0.5
	v_lshl_or_b32 v4, v4, 2, v5
	s_movk_i32 s0, 0x64
.LBB20_1:                               ; =>This Inner Loop Header: Depth=1
	s_waitcnt vmcnt(0) lgkmcnt(1)
	v_mov_b32_dpp v5, v2 quad_perm:[1,0,3,2] row_mask:0xf bank_mask:0xf
	s_waitcnt lgkmcnt(0)
	v_mov_b32_dpp v6, v3 quad_perm:[1,0,3,2] row_mask:0xf bank_mask:0xf
	v_add_f64 v[2:3], v[2:3], v[5:6]
	s_add_i32 s0, s0, -1
	s_cmp_eq_u32 s0, 0
	v_mov_b32_dpp v5, v2 quad_perm:[2,3,0,1] row_mask:0xf bank_mask:0xf
	v_mov_b32_dpp v6, v3 quad_perm:[2,3,0,1] row_mask:0xf bank_mask:0xf
	v_add_f64 v[2:3], v[2:3], v[5:6]
	s_nop 1
	v_mov_b32_dpp v5, v2 row_ror:4 row_mask:0xf bank_mask:0xf
	v_mov_b32_dpp v6, v3 row_ror:4 row_mask:0xf bank_mask:0xf
	v_add_f64 v[2:3], v[2:3], v[5:6]
	s_nop 1
	v_mov_b32_dpp v5, v2 row_ror:8 row_mask:0xf bank_mask:0xf
	v_mov_b32_dpp v6, v3 row_ror:8 row_mask:0xf bank_mask:0xf
	v_add_f64 v[2:3], v[2:3], v[5:6]
	s_nop 1
	v_mov_b32_dpp v5, v2 row_bcast:15 row_mask:0xf bank_mask:0xf
	v_mov_b32_dpp v6, v3 row_bcast:15 row_mask:0xf bank_mask:0xf
	v_add_f64 v[2:3], v[2:3], v[5:6]
	s_nop 1
	v_mov_b32_dpp v5, v2 row_bcast:31 row_mask:0xf bank_mask:0xf
	v_mov_b32_dpp v6, v3 row_bcast:31 row_mask:0xf bank_mask:0xf
	v_add_f64 v[2:3], v[2:3], v[5:6]
	ds_bpermute_b32 v2, v4, v2
	ds_bpermute_b32 v3, v4, v3
	s_cbranch_scc0 .LBB20_1
; %bb.2:
	v_mov_b32_e32 v4, s3
	v_add_co_u32_e32 v0, vcc, s2, v0
	v_addc_co_u32_e32 v1, vcc, v4, v1, vcc
	s_waitcnt lgkmcnt(0)
	global_store_dwordx2 v[0:1], v[2:3], off
	s_endpgm
	.section	.rodata,"a",@progbits
	.p2align	6, 0x0
	.amdhsa_kernel _Z18warp_reduce_kernelIdLj64ELj100EENSt9enable_ifIXsr15benchmark_utilsE35device_test_enabled_for_warp_size_vIXT0_EEEvE4typeEPKT_PS3_
		.amdhsa_group_segment_fixed_size 0
		.amdhsa_private_segment_fixed_size 0
		.amdhsa_kernarg_size 272
		.amdhsa_user_sgpr_count 6
		.amdhsa_user_sgpr_private_segment_buffer 1
		.amdhsa_user_sgpr_dispatch_ptr 0
		.amdhsa_user_sgpr_queue_ptr 0
		.amdhsa_user_sgpr_kernarg_segment_ptr 1
		.amdhsa_user_sgpr_dispatch_id 0
		.amdhsa_user_sgpr_flat_scratch_init 0
		.amdhsa_user_sgpr_private_segment_size 0
		.amdhsa_uses_dynamic_stack 0
		.amdhsa_system_sgpr_private_segment_wavefront_offset 0
		.amdhsa_system_sgpr_workgroup_id_x 1
		.amdhsa_system_sgpr_workgroup_id_y 0
		.amdhsa_system_sgpr_workgroup_id_z 0
		.amdhsa_system_sgpr_workgroup_info 0
		.amdhsa_system_vgpr_workitem_id 0
		.amdhsa_next_free_vgpr 7
		.amdhsa_next_free_sgpr 8
		.amdhsa_reserve_vcc 1
		.amdhsa_reserve_flat_scratch 0
		.amdhsa_float_round_mode_32 0
		.amdhsa_float_round_mode_16_64 0
		.amdhsa_float_denorm_mode_32 3
		.amdhsa_float_denorm_mode_16_64 3
		.amdhsa_dx10_clamp 1
		.amdhsa_ieee_mode 1
		.amdhsa_fp16_overflow 0
		.amdhsa_exception_fp_ieee_invalid_op 0
		.amdhsa_exception_fp_denorm_src 0
		.amdhsa_exception_fp_ieee_div_zero 0
		.amdhsa_exception_fp_ieee_overflow 0
		.amdhsa_exception_fp_ieee_underflow 0
		.amdhsa_exception_fp_ieee_inexact 0
		.amdhsa_exception_int_div_zero 0
	.end_amdhsa_kernel
	.section	.text._Z18warp_reduce_kernelIdLj64ELj100EENSt9enable_ifIXsr15benchmark_utilsE35device_test_enabled_for_warp_size_vIXT0_EEEvE4typeEPKT_PS3_,"axG",@progbits,_Z18warp_reduce_kernelIdLj64ELj100EENSt9enable_ifIXsr15benchmark_utilsE35device_test_enabled_for_warp_size_vIXT0_EEEvE4typeEPKT_PS3_,comdat
.Lfunc_end20:
	.size	_Z18warp_reduce_kernelIdLj64ELj100EENSt9enable_ifIXsr15benchmark_utilsE35device_test_enabled_for_warp_size_vIXT0_EEEvE4typeEPKT_PS3_, .Lfunc_end20-_Z18warp_reduce_kernelIdLj64ELj100EENSt9enable_ifIXsr15benchmark_utilsE35device_test_enabled_for_warp_size_vIXT0_EEEvE4typeEPKT_PS3_
                                        ; -- End function
	.set _Z18warp_reduce_kernelIdLj64ELj100EENSt9enable_ifIXsr15benchmark_utilsE35device_test_enabled_for_warp_size_vIXT0_EEEvE4typeEPKT_PS3_.num_vgpr, 7
	.set _Z18warp_reduce_kernelIdLj64ELj100EENSt9enable_ifIXsr15benchmark_utilsE35device_test_enabled_for_warp_size_vIXT0_EEEvE4typeEPKT_PS3_.num_agpr, 0
	.set _Z18warp_reduce_kernelIdLj64ELj100EENSt9enable_ifIXsr15benchmark_utilsE35device_test_enabled_for_warp_size_vIXT0_EEEvE4typeEPKT_PS3_.numbered_sgpr, 8
	.set _Z18warp_reduce_kernelIdLj64ELj100EENSt9enable_ifIXsr15benchmark_utilsE35device_test_enabled_for_warp_size_vIXT0_EEEvE4typeEPKT_PS3_.num_named_barrier, 0
	.set _Z18warp_reduce_kernelIdLj64ELj100EENSt9enable_ifIXsr15benchmark_utilsE35device_test_enabled_for_warp_size_vIXT0_EEEvE4typeEPKT_PS3_.private_seg_size, 0
	.set _Z18warp_reduce_kernelIdLj64ELj100EENSt9enable_ifIXsr15benchmark_utilsE35device_test_enabled_for_warp_size_vIXT0_EEEvE4typeEPKT_PS3_.uses_vcc, 1
	.set _Z18warp_reduce_kernelIdLj64ELj100EENSt9enable_ifIXsr15benchmark_utilsE35device_test_enabled_for_warp_size_vIXT0_EEEvE4typeEPKT_PS3_.uses_flat_scratch, 0
	.set _Z18warp_reduce_kernelIdLj64ELj100EENSt9enable_ifIXsr15benchmark_utilsE35device_test_enabled_for_warp_size_vIXT0_EEEvE4typeEPKT_PS3_.has_dyn_sized_stack, 0
	.set _Z18warp_reduce_kernelIdLj64ELj100EENSt9enable_ifIXsr15benchmark_utilsE35device_test_enabled_for_warp_size_vIXT0_EEEvE4typeEPKT_PS3_.has_recursion, 0
	.set _Z18warp_reduce_kernelIdLj64ELj100EENSt9enable_ifIXsr15benchmark_utilsE35device_test_enabled_for_warp_size_vIXT0_EEEvE4typeEPKT_PS3_.has_indirect_call, 0
	.section	.AMDGPU.csdata,"",@progbits
; Kernel info:
; codeLenInByte = 324
; TotalNumSgprs: 12
; NumVgprs: 7
; ScratchSize: 0
; MemoryBound: 0
; FloatMode: 240
; IeeeMode: 1
; LDSByteSize: 0 bytes/workgroup (compile time only)
; SGPRBlocks: 1
; VGPRBlocks: 1
; NumSGPRsForWavesPerEU: 12
; NumVGPRsForWavesPerEU: 7
; Occupancy: 10
; WaveLimiterHint : 0
; COMPUTE_PGM_RSRC2:SCRATCH_EN: 0
; COMPUTE_PGM_RSRC2:USER_SGPR: 6
; COMPUTE_PGM_RSRC2:TRAP_HANDLER: 0
; COMPUTE_PGM_RSRC2:TGID_X_EN: 1
; COMPUTE_PGM_RSRC2:TGID_Y_EN: 0
; COMPUTE_PGM_RSRC2:TGID_Z_EN: 0
; COMPUTE_PGM_RSRC2:TIDIG_COMP_CNT: 0
	.section	.text._Z18warp_reduce_kernelIaLj15ELj100EENSt9enable_ifIXsr15benchmark_utilsE35device_test_enabled_for_warp_size_vIXT0_EEEvE4typeEPKT_PS3_,"axG",@progbits,_Z18warp_reduce_kernelIaLj15ELj100EENSt9enable_ifIXsr15benchmark_utilsE35device_test_enabled_for_warp_size_vIXT0_EEEvE4typeEPKT_PS3_,comdat
	.protected	_Z18warp_reduce_kernelIaLj15ELj100EENSt9enable_ifIXsr15benchmark_utilsE35device_test_enabled_for_warp_size_vIXT0_EEEvE4typeEPKT_PS3_ ; -- Begin function _Z18warp_reduce_kernelIaLj15ELj100EENSt9enable_ifIXsr15benchmark_utilsE35device_test_enabled_for_warp_size_vIXT0_EEEvE4typeEPKT_PS3_
	.globl	_Z18warp_reduce_kernelIaLj15ELj100EENSt9enable_ifIXsr15benchmark_utilsE35device_test_enabled_for_warp_size_vIXT0_EEEvE4typeEPKT_PS3_
	.p2align	8
	.type	_Z18warp_reduce_kernelIaLj15ELj100EENSt9enable_ifIXsr15benchmark_utilsE35device_test_enabled_for_warp_size_vIXT0_EEEvE4typeEPKT_PS3_,@function
_Z18warp_reduce_kernelIaLj15ELj100EENSt9enable_ifIXsr15benchmark_utilsE35device_test_enabled_for_warp_size_vIXT0_EEEvE4typeEPKT_PS3_: ; @_Z18warp_reduce_kernelIaLj15ELj100EENSt9enable_ifIXsr15benchmark_utilsE35device_test_enabled_for_warp_size_vIXT0_EEEvE4typeEPKT_PS3_
; %bb.0:
	s_load_dword s0, s[4:5], 0x1c
	s_load_dwordx4 s[8:11], s[4:5], 0x0
	v_mbcnt_lo_u32_b32 v2, -1, 0
	v_mbcnt_hi_u32_b32 v2, -1, v2
	s_waitcnt lgkmcnt(0)
	s_and_b32 s0, s0, 0xffff
	s_mul_i32 s6, s6, s0
	v_add_u32_e32 v0, s6, v0
	global_load_ubyte v1, v0, s[8:9]
	s_mov_b32 s0, 0x11111112
	v_mul_hi_u32 v3, v2, s0
	s_movk_i32 s8, 0x64
	v_mul_u32_u24_e32 v3, 15, v3
	v_sub_u32_e32 v2, v2, v3
	v_cmp_gt_u32_e32 vcc, 7, v2
	v_cmp_gt_u32_e64 s[0:1], 4, v2
	v_cmp_gt_u32_e64 s[2:3], 2, v2
	v_cmp_eq_u32_e64 s[4:5], 0, v2
	s_branch .LBB21_2
.LBB21_1:                               ;   in Loop: Header=BB21_2 Depth=1
	s_or_b64 exec, exec, s[6:7]
	s_add_i32 s8, s8, -1
	s_cmp_eq_u32 s8, 0
	; wave barrier
	s_cbranch_scc1 .LBB21_18
.LBB21_2:                               ; =>This Inner Loop Header: Depth=1
	s_waitcnt vmcnt(0)
	ds_write_b8 v2, v1
	; wave barrier
	s_and_saveexec_b64 s[6:7], vcc
	s_cbranch_execz .LBB21_4
; %bb.3:                                ;   in Loop: Header=BB21_2 Depth=1
	ds_read_u8 v1, v2
	ds_read_u8 v3, v2 offset:8
	s_waitcnt lgkmcnt(0)
	v_add_u16_e32 v1, v3, v1
.LBB21_4:                               ;   in Loop: Header=BB21_2 Depth=1
	s_or_b64 exec, exec, s[6:7]
	; wave barrier
	s_and_saveexec_b64 s[6:7], vcc
; %bb.5:                                ;   in Loop: Header=BB21_2 Depth=1
	ds_write_b8 v2, v1
; %bb.6:                                ;   in Loop: Header=BB21_2 Depth=1
	s_or_b64 exec, exec, s[6:7]
	; wave barrier
	s_and_saveexec_b64 s[6:7], s[0:1]
	s_cbranch_execz .LBB21_8
; %bb.7:                                ;   in Loop: Header=BB21_2 Depth=1
	ds_read_u8 v1, v2
	ds_read_u8 v3, v2 offset:4
	s_waitcnt lgkmcnt(0)
	v_add_u16_e32 v1, v3, v1
.LBB21_8:                               ;   in Loop: Header=BB21_2 Depth=1
	s_or_b64 exec, exec, s[6:7]
	; wave barrier
	s_and_saveexec_b64 s[6:7], s[0:1]
; %bb.9:                                ;   in Loop: Header=BB21_2 Depth=1
	ds_write_b8 v2, v1
; %bb.10:                               ;   in Loop: Header=BB21_2 Depth=1
	s_or_b64 exec, exec, s[6:7]
	; wave barrier
	s_and_saveexec_b64 s[6:7], s[2:3]
	s_cbranch_execz .LBB21_12
; %bb.11:                               ;   in Loop: Header=BB21_2 Depth=1
	ds_read_u8 v1, v2
	ds_read_u8 v3, v2 offset:2
	s_waitcnt lgkmcnt(0)
	v_add_u16_e32 v1, v3, v1
.LBB21_12:                              ;   in Loop: Header=BB21_2 Depth=1
	s_or_b64 exec, exec, s[6:7]
	; wave barrier
	s_and_saveexec_b64 s[6:7], s[2:3]
; %bb.13:                               ;   in Loop: Header=BB21_2 Depth=1
	ds_write_b8 v2, v1
; %bb.14:                               ;   in Loop: Header=BB21_2 Depth=1
	s_or_b64 exec, exec, s[6:7]
	; wave barrier
	s_and_saveexec_b64 s[6:7], s[4:5]
	s_cbranch_execz .LBB21_16
; %bb.15:                               ;   in Loop: Header=BB21_2 Depth=1
	ds_read_u8 v1, v2
	ds_read_u8 v3, v2 offset:1
	s_waitcnt lgkmcnt(0)
	v_add_u16_e32 v1, v3, v1
.LBB21_16:                              ;   in Loop: Header=BB21_2 Depth=1
	s_or_b64 exec, exec, s[6:7]
	; wave barrier
	s_and_saveexec_b64 s[6:7], s[4:5]
	s_cbranch_execz .LBB21_1
; %bb.17:                               ;   in Loop: Header=BB21_2 Depth=1
	ds_write_b8 v2, v1
	s_branch .LBB21_1
.LBB21_18:
	v_mov_b32_e32 v3, s11
	v_add_co_u32_e32 v2, vcc, s10, v0
	v_addc_co_u32_e32 v3, vcc, 0, v3, vcc
	global_store_byte v[2:3], v1, off
	s_endpgm
	.section	.rodata,"a",@progbits
	.p2align	6, 0x0
	.amdhsa_kernel _Z18warp_reduce_kernelIaLj15ELj100EENSt9enable_ifIXsr15benchmark_utilsE35device_test_enabled_for_warp_size_vIXT0_EEEvE4typeEPKT_PS3_
		.amdhsa_group_segment_fixed_size 15
		.amdhsa_private_segment_fixed_size 0
		.amdhsa_kernarg_size 272
		.amdhsa_user_sgpr_count 6
		.amdhsa_user_sgpr_private_segment_buffer 1
		.amdhsa_user_sgpr_dispatch_ptr 0
		.amdhsa_user_sgpr_queue_ptr 0
		.amdhsa_user_sgpr_kernarg_segment_ptr 1
		.amdhsa_user_sgpr_dispatch_id 0
		.amdhsa_user_sgpr_flat_scratch_init 0
		.amdhsa_user_sgpr_private_segment_size 0
		.amdhsa_uses_dynamic_stack 0
		.amdhsa_system_sgpr_private_segment_wavefront_offset 0
		.amdhsa_system_sgpr_workgroup_id_x 1
		.amdhsa_system_sgpr_workgroup_id_y 0
		.amdhsa_system_sgpr_workgroup_id_z 0
		.amdhsa_system_sgpr_workgroup_info 0
		.amdhsa_system_vgpr_workitem_id 0
		.amdhsa_next_free_vgpr 4
		.amdhsa_next_free_sgpr 12
		.amdhsa_reserve_vcc 1
		.amdhsa_reserve_flat_scratch 0
		.amdhsa_float_round_mode_32 0
		.amdhsa_float_round_mode_16_64 0
		.amdhsa_float_denorm_mode_32 3
		.amdhsa_float_denorm_mode_16_64 3
		.amdhsa_dx10_clamp 1
		.amdhsa_ieee_mode 1
		.amdhsa_fp16_overflow 0
		.amdhsa_exception_fp_ieee_invalid_op 0
		.amdhsa_exception_fp_denorm_src 0
		.amdhsa_exception_fp_ieee_div_zero 0
		.amdhsa_exception_fp_ieee_overflow 0
		.amdhsa_exception_fp_ieee_underflow 0
		.amdhsa_exception_fp_ieee_inexact 0
		.amdhsa_exception_int_div_zero 0
	.end_amdhsa_kernel
	.section	.text._Z18warp_reduce_kernelIaLj15ELj100EENSt9enable_ifIXsr15benchmark_utilsE35device_test_enabled_for_warp_size_vIXT0_EEEvE4typeEPKT_PS3_,"axG",@progbits,_Z18warp_reduce_kernelIaLj15ELj100EENSt9enable_ifIXsr15benchmark_utilsE35device_test_enabled_for_warp_size_vIXT0_EEEvE4typeEPKT_PS3_,comdat
.Lfunc_end21:
	.size	_Z18warp_reduce_kernelIaLj15ELj100EENSt9enable_ifIXsr15benchmark_utilsE35device_test_enabled_for_warp_size_vIXT0_EEEvE4typeEPKT_PS3_, .Lfunc_end21-_Z18warp_reduce_kernelIaLj15ELj100EENSt9enable_ifIXsr15benchmark_utilsE35device_test_enabled_for_warp_size_vIXT0_EEEvE4typeEPKT_PS3_
                                        ; -- End function
	.set _Z18warp_reduce_kernelIaLj15ELj100EENSt9enable_ifIXsr15benchmark_utilsE35device_test_enabled_for_warp_size_vIXT0_EEEvE4typeEPKT_PS3_.num_vgpr, 4
	.set _Z18warp_reduce_kernelIaLj15ELj100EENSt9enable_ifIXsr15benchmark_utilsE35device_test_enabled_for_warp_size_vIXT0_EEEvE4typeEPKT_PS3_.num_agpr, 0
	.set _Z18warp_reduce_kernelIaLj15ELj100EENSt9enable_ifIXsr15benchmark_utilsE35device_test_enabled_for_warp_size_vIXT0_EEEvE4typeEPKT_PS3_.numbered_sgpr, 12
	.set _Z18warp_reduce_kernelIaLj15ELj100EENSt9enable_ifIXsr15benchmark_utilsE35device_test_enabled_for_warp_size_vIXT0_EEEvE4typeEPKT_PS3_.num_named_barrier, 0
	.set _Z18warp_reduce_kernelIaLj15ELj100EENSt9enable_ifIXsr15benchmark_utilsE35device_test_enabled_for_warp_size_vIXT0_EEEvE4typeEPKT_PS3_.private_seg_size, 0
	.set _Z18warp_reduce_kernelIaLj15ELj100EENSt9enable_ifIXsr15benchmark_utilsE35device_test_enabled_for_warp_size_vIXT0_EEEvE4typeEPKT_PS3_.uses_vcc, 1
	.set _Z18warp_reduce_kernelIaLj15ELj100EENSt9enable_ifIXsr15benchmark_utilsE35device_test_enabled_for_warp_size_vIXT0_EEEvE4typeEPKT_PS3_.uses_flat_scratch, 0
	.set _Z18warp_reduce_kernelIaLj15ELj100EENSt9enable_ifIXsr15benchmark_utilsE35device_test_enabled_for_warp_size_vIXT0_EEEvE4typeEPKT_PS3_.has_dyn_sized_stack, 0
	.set _Z18warp_reduce_kernelIaLj15ELj100EENSt9enable_ifIXsr15benchmark_utilsE35device_test_enabled_for_warp_size_vIXT0_EEEvE4typeEPKT_PS3_.has_recursion, 0
	.set _Z18warp_reduce_kernelIaLj15ELj100EENSt9enable_ifIXsr15benchmark_utilsE35device_test_enabled_for_warp_size_vIXT0_EEEvE4typeEPKT_PS3_.has_indirect_call, 0
	.section	.AMDGPU.csdata,"",@progbits
; Kernel info:
; codeLenInByte = 384
; TotalNumSgprs: 16
; NumVgprs: 4
; ScratchSize: 0
; MemoryBound: 0
; FloatMode: 240
; IeeeMode: 1
; LDSByteSize: 15 bytes/workgroup (compile time only)
; SGPRBlocks: 1
; VGPRBlocks: 0
; NumSGPRsForWavesPerEU: 16
; NumVGPRsForWavesPerEU: 4
; Occupancy: 10
; WaveLimiterHint : 0
; COMPUTE_PGM_RSRC2:SCRATCH_EN: 0
; COMPUTE_PGM_RSRC2:USER_SGPR: 6
; COMPUTE_PGM_RSRC2:TRAP_HANDLER: 0
; COMPUTE_PGM_RSRC2:TGID_X_EN: 1
; COMPUTE_PGM_RSRC2:TGID_Y_EN: 0
; COMPUTE_PGM_RSRC2:TGID_Z_EN: 0
; COMPUTE_PGM_RSRC2:TIDIG_COMP_CNT: 0
	.section	.text._Z18warp_reduce_kernelIaLj16ELj100EENSt9enable_ifIXsr15benchmark_utilsE35device_test_enabled_for_warp_size_vIXT0_EEEvE4typeEPKT_PS3_,"axG",@progbits,_Z18warp_reduce_kernelIaLj16ELj100EENSt9enable_ifIXsr15benchmark_utilsE35device_test_enabled_for_warp_size_vIXT0_EEEvE4typeEPKT_PS3_,comdat
	.protected	_Z18warp_reduce_kernelIaLj16ELj100EENSt9enable_ifIXsr15benchmark_utilsE35device_test_enabled_for_warp_size_vIXT0_EEEvE4typeEPKT_PS3_ ; -- Begin function _Z18warp_reduce_kernelIaLj16ELj100EENSt9enable_ifIXsr15benchmark_utilsE35device_test_enabled_for_warp_size_vIXT0_EEEvE4typeEPKT_PS3_
	.globl	_Z18warp_reduce_kernelIaLj16ELj100EENSt9enable_ifIXsr15benchmark_utilsE35device_test_enabled_for_warp_size_vIXT0_EEEvE4typeEPKT_PS3_
	.p2align	8
	.type	_Z18warp_reduce_kernelIaLj16ELj100EENSt9enable_ifIXsr15benchmark_utilsE35device_test_enabled_for_warp_size_vIXT0_EEEvE4typeEPKT_PS3_,@function
_Z18warp_reduce_kernelIaLj16ELj100EENSt9enable_ifIXsr15benchmark_utilsE35device_test_enabled_for_warp_size_vIXT0_EEEvE4typeEPKT_PS3_: ; @_Z18warp_reduce_kernelIaLj16ELj100EENSt9enable_ifIXsr15benchmark_utilsE35device_test_enabled_for_warp_size_vIXT0_EEEvE4typeEPKT_PS3_
; %bb.0:
	s_load_dword s7, s[4:5], 0x1c
	s_load_dwordx4 s[0:3], s[4:5], 0x0
	v_mbcnt_lo_u32_b32 v2, -1, 0
	v_mbcnt_hi_u32_b32 v5, -1, v2
	v_and_b32_e32 v4, 15, v5
	s_waitcnt lgkmcnt(0)
	s_and_b32 s4, s7, 0xffff
	s_mul_i32 s6, s6, s4
	v_add_u32_e32 v0, s6, v0
	global_load_ubyte v1, v0, s[0:1]
	v_cmp_ne_u32_e32 vcc, 15, v4
	v_addc_co_u32_e32 v2, vcc, 0, v5, vcc
	v_cmp_gt_u32_e32 vcc, 14, v4
	v_cndmask_b32_e64 v3, 0, 2, vcc
	v_cmp_gt_u32_e32 vcc, 12, v4
	v_cndmask_b32_e64 v4, 0, 4, vcc
	v_lshlrev_b32_e32 v2, 2, v2
	v_add_lshl_u32 v3, v3, v5, 2
	v_add_lshl_u32 v4, v4, v5, 2
	v_lshl_or_b32 v5, v5, 2, 32
	s_movk_i32 s0, 0x64
.LBB22_1:                               ; =>This Inner Loop Header: Depth=1
	s_waitcnt vmcnt(0)
	v_and_b32_e32 v6, 0xff, v1
	ds_bpermute_b32 v6, v2, v6
	s_add_i32 s0, s0, -1
	s_cmp_eq_u32 s0, 0
	s_waitcnt lgkmcnt(0)
	v_add_u16_e32 v1, v1, v6
	v_and_b32_e32 v6, 0xff, v1
	ds_bpermute_b32 v6, v3, v6
	s_waitcnt lgkmcnt(0)
	v_add_u16_e32 v1, v1, v6
	v_and_b32_e32 v6, 0xff, v1
	ds_bpermute_b32 v6, v4, v6
	;; [unrolled: 4-line block ×3, first 2 shown]
	s_waitcnt lgkmcnt(0)
	v_add_u16_e32 v1, v1, v6
	s_cbranch_scc0 .LBB22_1
; %bb.2:
	v_mov_b32_e32 v3, s3
	v_add_co_u32_e32 v2, vcc, s2, v0
	v_addc_co_u32_e32 v3, vcc, 0, v3, vcc
	global_store_byte v[2:3], v1, off
	s_endpgm
	.section	.rodata,"a",@progbits
	.p2align	6, 0x0
	.amdhsa_kernel _Z18warp_reduce_kernelIaLj16ELj100EENSt9enable_ifIXsr15benchmark_utilsE35device_test_enabled_for_warp_size_vIXT0_EEEvE4typeEPKT_PS3_
		.amdhsa_group_segment_fixed_size 0
		.amdhsa_private_segment_fixed_size 0
		.amdhsa_kernarg_size 272
		.amdhsa_user_sgpr_count 6
		.amdhsa_user_sgpr_private_segment_buffer 1
		.amdhsa_user_sgpr_dispatch_ptr 0
		.amdhsa_user_sgpr_queue_ptr 0
		.amdhsa_user_sgpr_kernarg_segment_ptr 1
		.amdhsa_user_sgpr_dispatch_id 0
		.amdhsa_user_sgpr_flat_scratch_init 0
		.amdhsa_user_sgpr_private_segment_size 0
		.amdhsa_uses_dynamic_stack 0
		.amdhsa_system_sgpr_private_segment_wavefront_offset 0
		.amdhsa_system_sgpr_workgroup_id_x 1
		.amdhsa_system_sgpr_workgroup_id_y 0
		.amdhsa_system_sgpr_workgroup_id_z 0
		.amdhsa_system_sgpr_workgroup_info 0
		.amdhsa_system_vgpr_workitem_id 0
		.amdhsa_next_free_vgpr 7
		.amdhsa_next_free_sgpr 8
		.amdhsa_reserve_vcc 1
		.amdhsa_reserve_flat_scratch 0
		.amdhsa_float_round_mode_32 0
		.amdhsa_float_round_mode_16_64 0
		.amdhsa_float_denorm_mode_32 3
		.amdhsa_float_denorm_mode_16_64 3
		.amdhsa_dx10_clamp 1
		.amdhsa_ieee_mode 1
		.amdhsa_fp16_overflow 0
		.amdhsa_exception_fp_ieee_invalid_op 0
		.amdhsa_exception_fp_denorm_src 0
		.amdhsa_exception_fp_ieee_div_zero 0
		.amdhsa_exception_fp_ieee_overflow 0
		.amdhsa_exception_fp_ieee_underflow 0
		.amdhsa_exception_fp_ieee_inexact 0
		.amdhsa_exception_int_div_zero 0
	.end_amdhsa_kernel
	.section	.text._Z18warp_reduce_kernelIaLj16ELj100EENSt9enable_ifIXsr15benchmark_utilsE35device_test_enabled_for_warp_size_vIXT0_EEEvE4typeEPKT_PS3_,"axG",@progbits,_Z18warp_reduce_kernelIaLj16ELj100EENSt9enable_ifIXsr15benchmark_utilsE35device_test_enabled_for_warp_size_vIXT0_EEEvE4typeEPKT_PS3_,comdat
.Lfunc_end22:
	.size	_Z18warp_reduce_kernelIaLj16ELj100EENSt9enable_ifIXsr15benchmark_utilsE35device_test_enabled_for_warp_size_vIXT0_EEEvE4typeEPKT_PS3_, .Lfunc_end22-_Z18warp_reduce_kernelIaLj16ELj100EENSt9enable_ifIXsr15benchmark_utilsE35device_test_enabled_for_warp_size_vIXT0_EEEvE4typeEPKT_PS3_
                                        ; -- End function
	.set _Z18warp_reduce_kernelIaLj16ELj100EENSt9enable_ifIXsr15benchmark_utilsE35device_test_enabled_for_warp_size_vIXT0_EEEvE4typeEPKT_PS3_.num_vgpr, 7
	.set _Z18warp_reduce_kernelIaLj16ELj100EENSt9enable_ifIXsr15benchmark_utilsE35device_test_enabled_for_warp_size_vIXT0_EEEvE4typeEPKT_PS3_.num_agpr, 0
	.set _Z18warp_reduce_kernelIaLj16ELj100EENSt9enable_ifIXsr15benchmark_utilsE35device_test_enabled_for_warp_size_vIXT0_EEEvE4typeEPKT_PS3_.numbered_sgpr, 8
	.set _Z18warp_reduce_kernelIaLj16ELj100EENSt9enable_ifIXsr15benchmark_utilsE35device_test_enabled_for_warp_size_vIXT0_EEEvE4typeEPKT_PS3_.num_named_barrier, 0
	.set _Z18warp_reduce_kernelIaLj16ELj100EENSt9enable_ifIXsr15benchmark_utilsE35device_test_enabled_for_warp_size_vIXT0_EEEvE4typeEPKT_PS3_.private_seg_size, 0
	.set _Z18warp_reduce_kernelIaLj16ELj100EENSt9enable_ifIXsr15benchmark_utilsE35device_test_enabled_for_warp_size_vIXT0_EEEvE4typeEPKT_PS3_.uses_vcc, 1
	.set _Z18warp_reduce_kernelIaLj16ELj100EENSt9enable_ifIXsr15benchmark_utilsE35device_test_enabled_for_warp_size_vIXT0_EEEvE4typeEPKT_PS3_.uses_flat_scratch, 0
	.set _Z18warp_reduce_kernelIaLj16ELj100EENSt9enable_ifIXsr15benchmark_utilsE35device_test_enabled_for_warp_size_vIXT0_EEEvE4typeEPKT_PS3_.has_dyn_sized_stack, 0
	.set _Z18warp_reduce_kernelIaLj16ELj100EENSt9enable_ifIXsr15benchmark_utilsE35device_test_enabled_for_warp_size_vIXT0_EEEvE4typeEPKT_PS3_.has_recursion, 0
	.set _Z18warp_reduce_kernelIaLj16ELj100EENSt9enable_ifIXsr15benchmark_utilsE35device_test_enabled_for_warp_size_vIXT0_EEEvE4typeEPKT_PS3_.has_indirect_call, 0
	.section	.AMDGPU.csdata,"",@progbits
; Kernel info:
; codeLenInByte = 264
; TotalNumSgprs: 12
; NumVgprs: 7
; ScratchSize: 0
; MemoryBound: 0
; FloatMode: 240
; IeeeMode: 1
; LDSByteSize: 0 bytes/workgroup (compile time only)
; SGPRBlocks: 1
; VGPRBlocks: 1
; NumSGPRsForWavesPerEU: 12
; NumVGPRsForWavesPerEU: 7
; Occupancy: 10
; WaveLimiterHint : 0
; COMPUTE_PGM_RSRC2:SCRATCH_EN: 0
; COMPUTE_PGM_RSRC2:USER_SGPR: 6
; COMPUTE_PGM_RSRC2:TRAP_HANDLER: 0
; COMPUTE_PGM_RSRC2:TGID_X_EN: 1
; COMPUTE_PGM_RSRC2:TGID_Y_EN: 0
; COMPUTE_PGM_RSRC2:TGID_Z_EN: 0
; COMPUTE_PGM_RSRC2:TIDIG_COMP_CNT: 0
	.section	.text._Z18warp_reduce_kernelIaLj31ELj100EENSt9enable_ifIXsr15benchmark_utilsE35device_test_enabled_for_warp_size_vIXT0_EEEvE4typeEPKT_PS3_,"axG",@progbits,_Z18warp_reduce_kernelIaLj31ELj100EENSt9enable_ifIXsr15benchmark_utilsE35device_test_enabled_for_warp_size_vIXT0_EEEvE4typeEPKT_PS3_,comdat
	.protected	_Z18warp_reduce_kernelIaLj31ELj100EENSt9enable_ifIXsr15benchmark_utilsE35device_test_enabled_for_warp_size_vIXT0_EEEvE4typeEPKT_PS3_ ; -- Begin function _Z18warp_reduce_kernelIaLj31ELj100EENSt9enable_ifIXsr15benchmark_utilsE35device_test_enabled_for_warp_size_vIXT0_EEEvE4typeEPKT_PS3_
	.globl	_Z18warp_reduce_kernelIaLj31ELj100EENSt9enable_ifIXsr15benchmark_utilsE35device_test_enabled_for_warp_size_vIXT0_EEEvE4typeEPKT_PS3_
	.p2align	8
	.type	_Z18warp_reduce_kernelIaLj31ELj100EENSt9enable_ifIXsr15benchmark_utilsE35device_test_enabled_for_warp_size_vIXT0_EEEvE4typeEPKT_PS3_,@function
_Z18warp_reduce_kernelIaLj31ELj100EENSt9enable_ifIXsr15benchmark_utilsE35device_test_enabled_for_warp_size_vIXT0_EEEvE4typeEPKT_PS3_: ; @_Z18warp_reduce_kernelIaLj31ELj100EENSt9enable_ifIXsr15benchmark_utilsE35device_test_enabled_for_warp_size_vIXT0_EEEvE4typeEPKT_PS3_
; %bb.0:
	s_load_dword s0, s[4:5], 0x1c
	s_load_dwordx4 s[8:11], s[4:5], 0x0
	v_mbcnt_lo_u32_b32 v1, -1, 0
	v_mbcnt_hi_u32_b32 v1, -1, v1
	s_movk_i32 s12, 0x64
	s_waitcnt lgkmcnt(0)
	s_and_b32 s0, s0, 0xffff
	s_mul_i32 s6, s6, s0
	v_add_u32_e32 v0, s6, v0
	global_load_ubyte v2, v0, s[8:9]
	s_mov_b32 s0, 0x8421085
	v_mul_hi_u32 v3, v1, s0
	v_mul_u32_u24_e32 v3, 31, v3
	v_sub_u32_e32 v1, v1, v3
	v_cmp_gt_u32_e32 vcc, 15, v1
	v_cmp_gt_u32_e64 s[0:1], 8, v1
	v_cmp_gt_u32_e64 s[2:3], 4, v1
	;; [unrolled: 1-line block ×3, first 2 shown]
	v_cmp_eq_u32_e64 s[6:7], 0, v1
	s_branch .LBB23_2
.LBB23_1:                               ;   in Loop: Header=BB23_2 Depth=1
	s_or_b64 exec, exec, s[8:9]
	s_add_i32 s12, s12, -1
	s_cmp_eq_u32 s12, 0
	; wave barrier
	s_cbranch_scc1 .LBB23_22
.LBB23_2:                               ; =>This Inner Loop Header: Depth=1
	s_waitcnt vmcnt(0)
	ds_write_b8 v1, v2
	; wave barrier
	s_and_saveexec_b64 s[8:9], vcc
	s_cbranch_execz .LBB23_4
; %bb.3:                                ;   in Loop: Header=BB23_2 Depth=1
	ds_read_u8 v2, v1
	ds_read_u8 v3, v1 offset:16
	s_waitcnt lgkmcnt(0)
	v_add_u16_e32 v2, v3, v2
.LBB23_4:                               ;   in Loop: Header=BB23_2 Depth=1
	s_or_b64 exec, exec, s[8:9]
	; wave barrier
	s_and_saveexec_b64 s[8:9], vcc
; %bb.5:                                ;   in Loop: Header=BB23_2 Depth=1
	ds_write_b8 v1, v2
; %bb.6:                                ;   in Loop: Header=BB23_2 Depth=1
	s_or_b64 exec, exec, s[8:9]
	; wave barrier
	s_and_saveexec_b64 s[8:9], s[0:1]
	s_cbranch_execz .LBB23_8
; %bb.7:                                ;   in Loop: Header=BB23_2 Depth=1
	ds_read_u8 v2, v1
	ds_read_u8 v3, v1 offset:8
	s_waitcnt lgkmcnt(0)
	v_add_u16_e32 v2, v3, v2
.LBB23_8:                               ;   in Loop: Header=BB23_2 Depth=1
	s_or_b64 exec, exec, s[8:9]
	; wave barrier
	s_and_saveexec_b64 s[8:9], s[0:1]
; %bb.9:                                ;   in Loop: Header=BB23_2 Depth=1
	ds_write_b8 v1, v2
; %bb.10:                               ;   in Loop: Header=BB23_2 Depth=1
	s_or_b64 exec, exec, s[8:9]
	; wave barrier
	s_and_saveexec_b64 s[8:9], s[2:3]
	s_cbranch_execz .LBB23_12
; %bb.11:                               ;   in Loop: Header=BB23_2 Depth=1
	ds_read_u8 v2, v1
	ds_read_u8 v3, v1 offset:4
	s_waitcnt lgkmcnt(0)
	v_add_u16_e32 v2, v3, v2
.LBB23_12:                              ;   in Loop: Header=BB23_2 Depth=1
	s_or_b64 exec, exec, s[8:9]
	; wave barrier
	s_and_saveexec_b64 s[8:9], s[2:3]
; %bb.13:                               ;   in Loop: Header=BB23_2 Depth=1
	ds_write_b8 v1, v2
; %bb.14:                               ;   in Loop: Header=BB23_2 Depth=1
	s_or_b64 exec, exec, s[8:9]
	; wave barrier
	s_and_saveexec_b64 s[8:9], s[4:5]
	s_cbranch_execz .LBB23_16
; %bb.15:                               ;   in Loop: Header=BB23_2 Depth=1
	ds_read_u8 v2, v1
	ds_read_u8 v3, v1 offset:2
	s_waitcnt lgkmcnt(0)
	v_add_u16_e32 v2, v3, v2
.LBB23_16:                              ;   in Loop: Header=BB23_2 Depth=1
	s_or_b64 exec, exec, s[8:9]
	; wave barrier
	s_and_saveexec_b64 s[8:9], s[4:5]
; %bb.17:                               ;   in Loop: Header=BB23_2 Depth=1
	ds_write_b8 v1, v2
; %bb.18:                               ;   in Loop: Header=BB23_2 Depth=1
	s_or_b64 exec, exec, s[8:9]
	; wave barrier
	s_and_saveexec_b64 s[8:9], s[6:7]
	s_cbranch_execz .LBB23_20
; %bb.19:                               ;   in Loop: Header=BB23_2 Depth=1
	ds_read_u8 v2, v1
	ds_read_u8 v3, v1 offset:1
	s_waitcnt lgkmcnt(0)
	v_add_u16_e32 v2, v3, v2
.LBB23_20:                              ;   in Loop: Header=BB23_2 Depth=1
	s_or_b64 exec, exec, s[8:9]
	; wave barrier
	s_and_saveexec_b64 s[8:9], s[6:7]
	s_cbranch_execz .LBB23_1
; %bb.21:                               ;   in Loop: Header=BB23_2 Depth=1
	ds_write_b8 v1, v2
	s_branch .LBB23_1
.LBB23_22:
	v_mov_b32_e32 v1, s11
	v_add_co_u32_e32 v0, vcc, s10, v0
	v_addc_co_u32_e32 v1, vcc, 0, v1, vcc
	global_store_byte v[0:1], v2, off
	s_endpgm
	.section	.rodata,"a",@progbits
	.p2align	6, 0x0
	.amdhsa_kernel _Z18warp_reduce_kernelIaLj31ELj100EENSt9enable_ifIXsr15benchmark_utilsE35device_test_enabled_for_warp_size_vIXT0_EEEvE4typeEPKT_PS3_
		.amdhsa_group_segment_fixed_size 31
		.amdhsa_private_segment_fixed_size 0
		.amdhsa_kernarg_size 272
		.amdhsa_user_sgpr_count 6
		.amdhsa_user_sgpr_private_segment_buffer 1
		.amdhsa_user_sgpr_dispatch_ptr 0
		.amdhsa_user_sgpr_queue_ptr 0
		.amdhsa_user_sgpr_kernarg_segment_ptr 1
		.amdhsa_user_sgpr_dispatch_id 0
		.amdhsa_user_sgpr_flat_scratch_init 0
		.amdhsa_user_sgpr_private_segment_size 0
		.amdhsa_uses_dynamic_stack 0
		.amdhsa_system_sgpr_private_segment_wavefront_offset 0
		.amdhsa_system_sgpr_workgroup_id_x 1
		.amdhsa_system_sgpr_workgroup_id_y 0
		.amdhsa_system_sgpr_workgroup_id_z 0
		.amdhsa_system_sgpr_workgroup_info 0
		.amdhsa_system_vgpr_workitem_id 0
		.amdhsa_next_free_vgpr 4
		.amdhsa_next_free_sgpr 13
		.amdhsa_reserve_vcc 1
		.amdhsa_reserve_flat_scratch 0
		.amdhsa_float_round_mode_32 0
		.amdhsa_float_round_mode_16_64 0
		.amdhsa_float_denorm_mode_32 3
		.amdhsa_float_denorm_mode_16_64 3
		.amdhsa_dx10_clamp 1
		.amdhsa_ieee_mode 1
		.amdhsa_fp16_overflow 0
		.amdhsa_exception_fp_ieee_invalid_op 0
		.amdhsa_exception_fp_denorm_src 0
		.amdhsa_exception_fp_ieee_div_zero 0
		.amdhsa_exception_fp_ieee_overflow 0
		.amdhsa_exception_fp_ieee_underflow 0
		.amdhsa_exception_fp_ieee_inexact 0
		.amdhsa_exception_int_div_zero 0
	.end_amdhsa_kernel
	.section	.text._Z18warp_reduce_kernelIaLj31ELj100EENSt9enable_ifIXsr15benchmark_utilsE35device_test_enabled_for_warp_size_vIXT0_EEEvE4typeEPKT_PS3_,"axG",@progbits,_Z18warp_reduce_kernelIaLj31ELj100EENSt9enable_ifIXsr15benchmark_utilsE35device_test_enabled_for_warp_size_vIXT0_EEEvE4typeEPKT_PS3_,comdat
.Lfunc_end23:
	.size	_Z18warp_reduce_kernelIaLj31ELj100EENSt9enable_ifIXsr15benchmark_utilsE35device_test_enabled_for_warp_size_vIXT0_EEEvE4typeEPKT_PS3_, .Lfunc_end23-_Z18warp_reduce_kernelIaLj31ELj100EENSt9enable_ifIXsr15benchmark_utilsE35device_test_enabled_for_warp_size_vIXT0_EEEvE4typeEPKT_PS3_
                                        ; -- End function
	.set _Z18warp_reduce_kernelIaLj31ELj100EENSt9enable_ifIXsr15benchmark_utilsE35device_test_enabled_for_warp_size_vIXT0_EEEvE4typeEPKT_PS3_.num_vgpr, 4
	.set _Z18warp_reduce_kernelIaLj31ELj100EENSt9enable_ifIXsr15benchmark_utilsE35device_test_enabled_for_warp_size_vIXT0_EEEvE4typeEPKT_PS3_.num_agpr, 0
	.set _Z18warp_reduce_kernelIaLj31ELj100EENSt9enable_ifIXsr15benchmark_utilsE35device_test_enabled_for_warp_size_vIXT0_EEEvE4typeEPKT_PS3_.numbered_sgpr, 13
	.set _Z18warp_reduce_kernelIaLj31ELj100EENSt9enable_ifIXsr15benchmark_utilsE35device_test_enabled_for_warp_size_vIXT0_EEEvE4typeEPKT_PS3_.num_named_barrier, 0
	.set _Z18warp_reduce_kernelIaLj31ELj100EENSt9enable_ifIXsr15benchmark_utilsE35device_test_enabled_for_warp_size_vIXT0_EEEvE4typeEPKT_PS3_.private_seg_size, 0
	.set _Z18warp_reduce_kernelIaLj31ELj100EENSt9enable_ifIXsr15benchmark_utilsE35device_test_enabled_for_warp_size_vIXT0_EEEvE4typeEPKT_PS3_.uses_vcc, 1
	.set _Z18warp_reduce_kernelIaLj31ELj100EENSt9enable_ifIXsr15benchmark_utilsE35device_test_enabled_for_warp_size_vIXT0_EEEvE4typeEPKT_PS3_.uses_flat_scratch, 0
	.set _Z18warp_reduce_kernelIaLj31ELj100EENSt9enable_ifIXsr15benchmark_utilsE35device_test_enabled_for_warp_size_vIXT0_EEEvE4typeEPKT_PS3_.has_dyn_sized_stack, 0
	.set _Z18warp_reduce_kernelIaLj31ELj100EENSt9enable_ifIXsr15benchmark_utilsE35device_test_enabled_for_warp_size_vIXT0_EEEvE4typeEPKT_PS3_.has_recursion, 0
	.set _Z18warp_reduce_kernelIaLj31ELj100EENSt9enable_ifIXsr15benchmark_utilsE35device_test_enabled_for_warp_size_vIXT0_EEEvE4typeEPKT_PS3_.has_indirect_call, 0
	.section	.AMDGPU.csdata,"",@progbits
; Kernel info:
; codeLenInByte = 444
; TotalNumSgprs: 17
; NumVgprs: 4
; ScratchSize: 0
; MemoryBound: 0
; FloatMode: 240
; IeeeMode: 1
; LDSByteSize: 31 bytes/workgroup (compile time only)
; SGPRBlocks: 2
; VGPRBlocks: 0
; NumSGPRsForWavesPerEU: 17
; NumVGPRsForWavesPerEU: 4
; Occupancy: 10
; WaveLimiterHint : 0
; COMPUTE_PGM_RSRC2:SCRATCH_EN: 0
; COMPUTE_PGM_RSRC2:USER_SGPR: 6
; COMPUTE_PGM_RSRC2:TRAP_HANDLER: 0
; COMPUTE_PGM_RSRC2:TGID_X_EN: 1
; COMPUTE_PGM_RSRC2:TGID_Y_EN: 0
; COMPUTE_PGM_RSRC2:TGID_Z_EN: 0
; COMPUTE_PGM_RSRC2:TIDIG_COMP_CNT: 0
	.section	.text._Z18warp_reduce_kernelIaLj32ELj100EENSt9enable_ifIXsr15benchmark_utilsE35device_test_enabled_for_warp_size_vIXT0_EEEvE4typeEPKT_PS3_,"axG",@progbits,_Z18warp_reduce_kernelIaLj32ELj100EENSt9enable_ifIXsr15benchmark_utilsE35device_test_enabled_for_warp_size_vIXT0_EEEvE4typeEPKT_PS3_,comdat
	.protected	_Z18warp_reduce_kernelIaLj32ELj100EENSt9enable_ifIXsr15benchmark_utilsE35device_test_enabled_for_warp_size_vIXT0_EEEvE4typeEPKT_PS3_ ; -- Begin function _Z18warp_reduce_kernelIaLj32ELj100EENSt9enable_ifIXsr15benchmark_utilsE35device_test_enabled_for_warp_size_vIXT0_EEEvE4typeEPKT_PS3_
	.globl	_Z18warp_reduce_kernelIaLj32ELj100EENSt9enable_ifIXsr15benchmark_utilsE35device_test_enabled_for_warp_size_vIXT0_EEEvE4typeEPKT_PS3_
	.p2align	8
	.type	_Z18warp_reduce_kernelIaLj32ELj100EENSt9enable_ifIXsr15benchmark_utilsE35device_test_enabled_for_warp_size_vIXT0_EEEvE4typeEPKT_PS3_,@function
_Z18warp_reduce_kernelIaLj32ELj100EENSt9enable_ifIXsr15benchmark_utilsE35device_test_enabled_for_warp_size_vIXT0_EEEvE4typeEPKT_PS3_: ; @_Z18warp_reduce_kernelIaLj32ELj100EENSt9enable_ifIXsr15benchmark_utilsE35device_test_enabled_for_warp_size_vIXT0_EEEvE4typeEPKT_PS3_
; %bb.0:
	s_load_dword s7, s[4:5], 0x1c
	s_load_dwordx4 s[0:3], s[4:5], 0x0
	v_mbcnt_lo_u32_b32 v1, -1, 0
	v_mbcnt_hi_u32_b32 v6, -1, v1
	v_and_b32_e32 v5, 31, v6
	s_waitcnt lgkmcnt(0)
	s_and_b32 s4, s7, 0xffff
	s_mul_i32 s6, s6, s4
	v_add_u32_e32 v0, s6, v0
	global_load_ubyte v2, v0, s[0:1]
	v_cmp_ne_u32_e32 vcc, 31, v5
	v_addc_co_u32_e32 v1, vcc, 0, v6, vcc
	v_cmp_gt_u32_e32 vcc, 30, v5
	v_cndmask_b32_e64 v3, 0, 2, vcc
	v_cmp_gt_u32_e32 vcc, 28, v5
	v_cndmask_b32_e64 v4, 0, 4, vcc
	;; [unrolled: 2-line block ×3, first 2 shown]
	v_lshlrev_b32_e32 v1, 2, v1
	v_add_lshl_u32 v3, v3, v6, 2
	v_add_lshl_u32 v4, v4, v6, 2
	;; [unrolled: 1-line block ×3, first 2 shown]
	v_lshl_or_b32 v6, v6, 2, 64
	s_movk_i32 s0, 0x64
.LBB24_1:                               ; =>This Inner Loop Header: Depth=1
	s_waitcnt vmcnt(0)
	v_and_b32_e32 v7, 0xff, v2
	ds_bpermute_b32 v7, v1, v7
	s_add_i32 s0, s0, -1
	s_cmp_eq_u32 s0, 0
	s_waitcnt lgkmcnt(0)
	v_add_u16_e32 v2, v2, v7
	v_and_b32_e32 v7, 0xff, v2
	ds_bpermute_b32 v7, v3, v7
	s_waitcnt lgkmcnt(0)
	v_add_u16_e32 v2, v2, v7
	v_and_b32_e32 v7, 0xff, v2
	ds_bpermute_b32 v7, v4, v7
	s_waitcnt lgkmcnt(0)
	v_add_u16_e32 v2, v2, v7
	v_and_b32_e32 v7, 0xff, v2
	ds_bpermute_b32 v7, v5, v7
	s_waitcnt lgkmcnt(0)
	v_add_u16_e32 v2, v2, v7
	v_and_b32_e32 v7, 0xff, v2
	ds_bpermute_b32 v7, v6, v7
	s_waitcnt lgkmcnt(0)
	v_add_u16_e32 v2, v2, v7
	s_cbranch_scc0 .LBB24_1
; %bb.2:
	v_mov_b32_e32 v1, s3
	v_add_co_u32_e32 v0, vcc, s2, v0
	v_addc_co_u32_e32 v1, vcc, 0, v1, vcc
	global_store_byte v[0:1], v2, off
	s_endpgm
	.section	.rodata,"a",@progbits
	.p2align	6, 0x0
	.amdhsa_kernel _Z18warp_reduce_kernelIaLj32ELj100EENSt9enable_ifIXsr15benchmark_utilsE35device_test_enabled_for_warp_size_vIXT0_EEEvE4typeEPKT_PS3_
		.amdhsa_group_segment_fixed_size 0
		.amdhsa_private_segment_fixed_size 0
		.amdhsa_kernarg_size 272
		.amdhsa_user_sgpr_count 6
		.amdhsa_user_sgpr_private_segment_buffer 1
		.amdhsa_user_sgpr_dispatch_ptr 0
		.amdhsa_user_sgpr_queue_ptr 0
		.amdhsa_user_sgpr_kernarg_segment_ptr 1
		.amdhsa_user_sgpr_dispatch_id 0
		.amdhsa_user_sgpr_flat_scratch_init 0
		.amdhsa_user_sgpr_private_segment_size 0
		.amdhsa_uses_dynamic_stack 0
		.amdhsa_system_sgpr_private_segment_wavefront_offset 0
		.amdhsa_system_sgpr_workgroup_id_x 1
		.amdhsa_system_sgpr_workgroup_id_y 0
		.amdhsa_system_sgpr_workgroup_id_z 0
		.amdhsa_system_sgpr_workgroup_info 0
		.amdhsa_system_vgpr_workitem_id 0
		.amdhsa_next_free_vgpr 8
		.amdhsa_next_free_sgpr 8
		.amdhsa_reserve_vcc 1
		.amdhsa_reserve_flat_scratch 0
		.amdhsa_float_round_mode_32 0
		.amdhsa_float_round_mode_16_64 0
		.amdhsa_float_denorm_mode_32 3
		.amdhsa_float_denorm_mode_16_64 3
		.amdhsa_dx10_clamp 1
		.amdhsa_ieee_mode 1
		.amdhsa_fp16_overflow 0
		.amdhsa_exception_fp_ieee_invalid_op 0
		.amdhsa_exception_fp_denorm_src 0
		.amdhsa_exception_fp_ieee_div_zero 0
		.amdhsa_exception_fp_ieee_overflow 0
		.amdhsa_exception_fp_ieee_underflow 0
		.amdhsa_exception_fp_ieee_inexact 0
		.amdhsa_exception_int_div_zero 0
	.end_amdhsa_kernel
	.section	.text._Z18warp_reduce_kernelIaLj32ELj100EENSt9enable_ifIXsr15benchmark_utilsE35device_test_enabled_for_warp_size_vIXT0_EEEvE4typeEPKT_PS3_,"axG",@progbits,_Z18warp_reduce_kernelIaLj32ELj100EENSt9enable_ifIXsr15benchmark_utilsE35device_test_enabled_for_warp_size_vIXT0_EEEvE4typeEPKT_PS3_,comdat
.Lfunc_end24:
	.size	_Z18warp_reduce_kernelIaLj32ELj100EENSt9enable_ifIXsr15benchmark_utilsE35device_test_enabled_for_warp_size_vIXT0_EEEvE4typeEPKT_PS3_, .Lfunc_end24-_Z18warp_reduce_kernelIaLj32ELj100EENSt9enable_ifIXsr15benchmark_utilsE35device_test_enabled_for_warp_size_vIXT0_EEEvE4typeEPKT_PS3_
                                        ; -- End function
	.set _Z18warp_reduce_kernelIaLj32ELj100EENSt9enable_ifIXsr15benchmark_utilsE35device_test_enabled_for_warp_size_vIXT0_EEEvE4typeEPKT_PS3_.num_vgpr, 8
	.set _Z18warp_reduce_kernelIaLj32ELj100EENSt9enable_ifIXsr15benchmark_utilsE35device_test_enabled_for_warp_size_vIXT0_EEEvE4typeEPKT_PS3_.num_agpr, 0
	.set _Z18warp_reduce_kernelIaLj32ELj100EENSt9enable_ifIXsr15benchmark_utilsE35device_test_enabled_for_warp_size_vIXT0_EEEvE4typeEPKT_PS3_.numbered_sgpr, 8
	.set _Z18warp_reduce_kernelIaLj32ELj100EENSt9enable_ifIXsr15benchmark_utilsE35device_test_enabled_for_warp_size_vIXT0_EEEvE4typeEPKT_PS3_.num_named_barrier, 0
	.set _Z18warp_reduce_kernelIaLj32ELj100EENSt9enable_ifIXsr15benchmark_utilsE35device_test_enabled_for_warp_size_vIXT0_EEEvE4typeEPKT_PS3_.private_seg_size, 0
	.set _Z18warp_reduce_kernelIaLj32ELj100EENSt9enable_ifIXsr15benchmark_utilsE35device_test_enabled_for_warp_size_vIXT0_EEEvE4typeEPKT_PS3_.uses_vcc, 1
	.set _Z18warp_reduce_kernelIaLj32ELj100EENSt9enable_ifIXsr15benchmark_utilsE35device_test_enabled_for_warp_size_vIXT0_EEEvE4typeEPKT_PS3_.uses_flat_scratch, 0
	.set _Z18warp_reduce_kernelIaLj32ELj100EENSt9enable_ifIXsr15benchmark_utilsE35device_test_enabled_for_warp_size_vIXT0_EEEvE4typeEPKT_PS3_.has_dyn_sized_stack, 0
	.set _Z18warp_reduce_kernelIaLj32ELj100EENSt9enable_ifIXsr15benchmark_utilsE35device_test_enabled_for_warp_size_vIXT0_EEEvE4typeEPKT_PS3_.has_recursion, 0
	.set _Z18warp_reduce_kernelIaLj32ELj100EENSt9enable_ifIXsr15benchmark_utilsE35device_test_enabled_for_warp_size_vIXT0_EEEvE4typeEPKT_PS3_.has_indirect_call, 0
	.section	.AMDGPU.csdata,"",@progbits
; Kernel info:
; codeLenInByte = 308
; TotalNumSgprs: 12
; NumVgprs: 8
; ScratchSize: 0
; MemoryBound: 0
; FloatMode: 240
; IeeeMode: 1
; LDSByteSize: 0 bytes/workgroup (compile time only)
; SGPRBlocks: 1
; VGPRBlocks: 1
; NumSGPRsForWavesPerEU: 12
; NumVGPRsForWavesPerEU: 8
; Occupancy: 10
; WaveLimiterHint : 0
; COMPUTE_PGM_RSRC2:SCRATCH_EN: 0
; COMPUTE_PGM_RSRC2:USER_SGPR: 6
; COMPUTE_PGM_RSRC2:TRAP_HANDLER: 0
; COMPUTE_PGM_RSRC2:TGID_X_EN: 1
; COMPUTE_PGM_RSRC2:TGID_Y_EN: 0
; COMPUTE_PGM_RSRC2:TGID_Z_EN: 0
; COMPUTE_PGM_RSRC2:TIDIG_COMP_CNT: 0
	.section	.text._Z18warp_reduce_kernelIaLj37ELj100EENSt9enable_ifIXsr15benchmark_utilsE35device_test_enabled_for_warp_size_vIXT0_EEEvE4typeEPKT_PS3_,"axG",@progbits,_Z18warp_reduce_kernelIaLj37ELj100EENSt9enable_ifIXsr15benchmark_utilsE35device_test_enabled_for_warp_size_vIXT0_EEEvE4typeEPKT_PS3_,comdat
	.protected	_Z18warp_reduce_kernelIaLj37ELj100EENSt9enable_ifIXsr15benchmark_utilsE35device_test_enabled_for_warp_size_vIXT0_EEEvE4typeEPKT_PS3_ ; -- Begin function _Z18warp_reduce_kernelIaLj37ELj100EENSt9enable_ifIXsr15benchmark_utilsE35device_test_enabled_for_warp_size_vIXT0_EEEvE4typeEPKT_PS3_
	.globl	_Z18warp_reduce_kernelIaLj37ELj100EENSt9enable_ifIXsr15benchmark_utilsE35device_test_enabled_for_warp_size_vIXT0_EEEvE4typeEPKT_PS3_
	.p2align	8
	.type	_Z18warp_reduce_kernelIaLj37ELj100EENSt9enable_ifIXsr15benchmark_utilsE35device_test_enabled_for_warp_size_vIXT0_EEEvE4typeEPKT_PS3_,@function
_Z18warp_reduce_kernelIaLj37ELj100EENSt9enable_ifIXsr15benchmark_utilsE35device_test_enabled_for_warp_size_vIXT0_EEEvE4typeEPKT_PS3_: ; @_Z18warp_reduce_kernelIaLj37ELj100EENSt9enable_ifIXsr15benchmark_utilsE35device_test_enabled_for_warp_size_vIXT0_EEEvE4typeEPKT_PS3_
; %bb.0:
	s_load_dword s0, s[4:5], 0x1c
	s_load_dwordx4 s[8:11], s[4:5], 0x0
	v_mbcnt_lo_u32_b32 v1, -1, 0
	v_mbcnt_hi_u32_b32 v1, -1, v1
	s_movk_i32 s14, 0x64
	s_waitcnt lgkmcnt(0)
	s_and_b32 s0, s0, 0xffff
	s_mul_i32 s6, s6, s0
	v_add_u32_e32 v0, s6, v0
	global_load_ubyte v2, v0, s[8:9]
	s_mov_b32 s0, 0x6eb3e46
	v_mul_hi_u32 v3, v1, s0
	v_mul_u32_u24_e32 v3, 37, v3
	v_sub_u32_e32 v1, v1, v3
	v_cmp_gt_u32_e32 vcc, 5, v1
	v_cmp_gt_u32_e64 s[0:1], 16, v1
	v_cmp_gt_u32_e64 s[2:3], 8, v1
	v_cmp_gt_u32_e64 s[4:5], 4, v1
	v_cmp_gt_u32_e64 s[6:7], 2, v1
	v_cmp_eq_u32_e64 s[8:9], 0, v1
	s_branch .LBB25_2
.LBB25_1:                               ;   in Loop: Header=BB25_2 Depth=1
	s_or_b64 exec, exec, s[12:13]
	s_add_i32 s14, s14, -1
	s_cmp_eq_u32 s14, 0
	; wave barrier
	s_cbranch_scc1 .LBB25_26
.LBB25_2:                               ; =>This Inner Loop Header: Depth=1
	s_waitcnt vmcnt(0)
	ds_write_b8 v1, v2
	; wave barrier
	s_and_saveexec_b64 s[12:13], vcc
	s_cbranch_execz .LBB25_4
; %bb.3:                                ;   in Loop: Header=BB25_2 Depth=1
	ds_read_u8 v2, v1
	ds_read_u8 v3, v1 offset:32
	s_waitcnt lgkmcnt(0)
	v_add_u16_e32 v2, v3, v2
.LBB25_4:                               ;   in Loop: Header=BB25_2 Depth=1
	s_or_b64 exec, exec, s[12:13]
	; wave barrier
	s_and_saveexec_b64 s[12:13], vcc
; %bb.5:                                ;   in Loop: Header=BB25_2 Depth=1
	ds_write_b8 v1, v2
; %bb.6:                                ;   in Loop: Header=BB25_2 Depth=1
	s_or_b64 exec, exec, s[12:13]
	; wave barrier
	s_and_saveexec_b64 s[12:13], s[0:1]
	s_cbranch_execz .LBB25_8
; %bb.7:                                ;   in Loop: Header=BB25_2 Depth=1
	ds_read_u8 v2, v1
	ds_read_u8 v3, v1 offset:16
	s_waitcnt lgkmcnt(0)
	v_add_u16_e32 v2, v3, v2
.LBB25_8:                               ;   in Loop: Header=BB25_2 Depth=1
	s_or_b64 exec, exec, s[12:13]
	; wave barrier
	s_and_saveexec_b64 s[12:13], s[0:1]
; %bb.9:                                ;   in Loop: Header=BB25_2 Depth=1
	ds_write_b8 v1, v2
; %bb.10:                               ;   in Loop: Header=BB25_2 Depth=1
	s_or_b64 exec, exec, s[12:13]
	; wave barrier
	s_and_saveexec_b64 s[12:13], s[2:3]
	s_cbranch_execz .LBB25_12
; %bb.11:                               ;   in Loop: Header=BB25_2 Depth=1
	ds_read_u8 v2, v1
	ds_read_u8 v3, v1 offset:8
	s_waitcnt lgkmcnt(0)
	v_add_u16_e32 v2, v3, v2
.LBB25_12:                              ;   in Loop: Header=BB25_2 Depth=1
	s_or_b64 exec, exec, s[12:13]
	; wave barrier
	s_and_saveexec_b64 s[12:13], s[2:3]
; %bb.13:                               ;   in Loop: Header=BB25_2 Depth=1
	ds_write_b8 v1, v2
; %bb.14:                               ;   in Loop: Header=BB25_2 Depth=1
	s_or_b64 exec, exec, s[12:13]
	; wave barrier
	s_and_saveexec_b64 s[12:13], s[4:5]
	s_cbranch_execz .LBB25_16
; %bb.15:                               ;   in Loop: Header=BB25_2 Depth=1
	ds_read_u8 v2, v1
	ds_read_u8 v3, v1 offset:4
	s_waitcnt lgkmcnt(0)
	v_add_u16_e32 v2, v3, v2
.LBB25_16:                              ;   in Loop: Header=BB25_2 Depth=1
	s_or_b64 exec, exec, s[12:13]
	; wave barrier
	s_and_saveexec_b64 s[12:13], s[4:5]
; %bb.17:                               ;   in Loop: Header=BB25_2 Depth=1
	ds_write_b8 v1, v2
; %bb.18:                               ;   in Loop: Header=BB25_2 Depth=1
	s_or_b64 exec, exec, s[12:13]
	; wave barrier
	s_and_saveexec_b64 s[12:13], s[6:7]
	s_cbranch_execz .LBB25_20
; %bb.19:                               ;   in Loop: Header=BB25_2 Depth=1
	ds_read_u8 v2, v1
	ds_read_u8 v3, v1 offset:2
	s_waitcnt lgkmcnt(0)
	v_add_u16_e32 v2, v3, v2
.LBB25_20:                              ;   in Loop: Header=BB25_2 Depth=1
	s_or_b64 exec, exec, s[12:13]
	; wave barrier
	s_and_saveexec_b64 s[12:13], s[6:7]
; %bb.21:                               ;   in Loop: Header=BB25_2 Depth=1
	ds_write_b8 v1, v2
; %bb.22:                               ;   in Loop: Header=BB25_2 Depth=1
	s_or_b64 exec, exec, s[12:13]
	; wave barrier
	s_and_saveexec_b64 s[12:13], s[8:9]
	s_cbranch_execz .LBB25_24
; %bb.23:                               ;   in Loop: Header=BB25_2 Depth=1
	ds_read_u8 v2, v1
	ds_read_u8 v3, v1 offset:1
	s_waitcnt lgkmcnt(0)
	v_add_u16_e32 v2, v3, v2
.LBB25_24:                              ;   in Loop: Header=BB25_2 Depth=1
	s_or_b64 exec, exec, s[12:13]
	; wave barrier
	s_and_saveexec_b64 s[12:13], s[8:9]
	s_cbranch_execz .LBB25_1
; %bb.25:                               ;   in Loop: Header=BB25_2 Depth=1
	ds_write_b8 v1, v2
	s_branch .LBB25_1
.LBB25_26:
	v_mov_b32_e32 v1, s11
	v_add_co_u32_e32 v0, vcc, s10, v0
	v_addc_co_u32_e32 v1, vcc, 0, v1, vcc
	global_store_byte v[0:1], v2, off
	s_endpgm
	.section	.rodata,"a",@progbits
	.p2align	6, 0x0
	.amdhsa_kernel _Z18warp_reduce_kernelIaLj37ELj100EENSt9enable_ifIXsr15benchmark_utilsE35device_test_enabled_for_warp_size_vIXT0_EEEvE4typeEPKT_PS3_
		.amdhsa_group_segment_fixed_size 37
		.amdhsa_private_segment_fixed_size 0
		.amdhsa_kernarg_size 272
		.amdhsa_user_sgpr_count 6
		.amdhsa_user_sgpr_private_segment_buffer 1
		.amdhsa_user_sgpr_dispatch_ptr 0
		.amdhsa_user_sgpr_queue_ptr 0
		.amdhsa_user_sgpr_kernarg_segment_ptr 1
		.amdhsa_user_sgpr_dispatch_id 0
		.amdhsa_user_sgpr_flat_scratch_init 0
		.amdhsa_user_sgpr_private_segment_size 0
		.amdhsa_uses_dynamic_stack 0
		.amdhsa_system_sgpr_private_segment_wavefront_offset 0
		.amdhsa_system_sgpr_workgroup_id_x 1
		.amdhsa_system_sgpr_workgroup_id_y 0
		.amdhsa_system_sgpr_workgroup_id_z 0
		.amdhsa_system_sgpr_workgroup_info 0
		.amdhsa_system_vgpr_workitem_id 0
		.amdhsa_next_free_vgpr 4
		.amdhsa_next_free_sgpr 15
		.amdhsa_reserve_vcc 1
		.amdhsa_reserve_flat_scratch 0
		.amdhsa_float_round_mode_32 0
		.amdhsa_float_round_mode_16_64 0
		.amdhsa_float_denorm_mode_32 3
		.amdhsa_float_denorm_mode_16_64 3
		.amdhsa_dx10_clamp 1
		.amdhsa_ieee_mode 1
		.amdhsa_fp16_overflow 0
		.amdhsa_exception_fp_ieee_invalid_op 0
		.amdhsa_exception_fp_denorm_src 0
		.amdhsa_exception_fp_ieee_div_zero 0
		.amdhsa_exception_fp_ieee_overflow 0
		.amdhsa_exception_fp_ieee_underflow 0
		.amdhsa_exception_fp_ieee_inexact 0
		.amdhsa_exception_int_div_zero 0
	.end_amdhsa_kernel
	.section	.text._Z18warp_reduce_kernelIaLj37ELj100EENSt9enable_ifIXsr15benchmark_utilsE35device_test_enabled_for_warp_size_vIXT0_EEEvE4typeEPKT_PS3_,"axG",@progbits,_Z18warp_reduce_kernelIaLj37ELj100EENSt9enable_ifIXsr15benchmark_utilsE35device_test_enabled_for_warp_size_vIXT0_EEEvE4typeEPKT_PS3_,comdat
.Lfunc_end25:
	.size	_Z18warp_reduce_kernelIaLj37ELj100EENSt9enable_ifIXsr15benchmark_utilsE35device_test_enabled_for_warp_size_vIXT0_EEEvE4typeEPKT_PS3_, .Lfunc_end25-_Z18warp_reduce_kernelIaLj37ELj100EENSt9enable_ifIXsr15benchmark_utilsE35device_test_enabled_for_warp_size_vIXT0_EEEvE4typeEPKT_PS3_
                                        ; -- End function
	.set _Z18warp_reduce_kernelIaLj37ELj100EENSt9enable_ifIXsr15benchmark_utilsE35device_test_enabled_for_warp_size_vIXT0_EEEvE4typeEPKT_PS3_.num_vgpr, 4
	.set _Z18warp_reduce_kernelIaLj37ELj100EENSt9enable_ifIXsr15benchmark_utilsE35device_test_enabled_for_warp_size_vIXT0_EEEvE4typeEPKT_PS3_.num_agpr, 0
	.set _Z18warp_reduce_kernelIaLj37ELj100EENSt9enable_ifIXsr15benchmark_utilsE35device_test_enabled_for_warp_size_vIXT0_EEEvE4typeEPKT_PS3_.numbered_sgpr, 15
	.set _Z18warp_reduce_kernelIaLj37ELj100EENSt9enable_ifIXsr15benchmark_utilsE35device_test_enabled_for_warp_size_vIXT0_EEEvE4typeEPKT_PS3_.num_named_barrier, 0
	.set _Z18warp_reduce_kernelIaLj37ELj100EENSt9enable_ifIXsr15benchmark_utilsE35device_test_enabled_for_warp_size_vIXT0_EEEvE4typeEPKT_PS3_.private_seg_size, 0
	.set _Z18warp_reduce_kernelIaLj37ELj100EENSt9enable_ifIXsr15benchmark_utilsE35device_test_enabled_for_warp_size_vIXT0_EEEvE4typeEPKT_PS3_.uses_vcc, 1
	.set _Z18warp_reduce_kernelIaLj37ELj100EENSt9enable_ifIXsr15benchmark_utilsE35device_test_enabled_for_warp_size_vIXT0_EEEvE4typeEPKT_PS3_.uses_flat_scratch, 0
	.set _Z18warp_reduce_kernelIaLj37ELj100EENSt9enable_ifIXsr15benchmark_utilsE35device_test_enabled_for_warp_size_vIXT0_EEEvE4typeEPKT_PS3_.has_dyn_sized_stack, 0
	.set _Z18warp_reduce_kernelIaLj37ELj100EENSt9enable_ifIXsr15benchmark_utilsE35device_test_enabled_for_warp_size_vIXT0_EEEvE4typeEPKT_PS3_.has_recursion, 0
	.set _Z18warp_reduce_kernelIaLj37ELj100EENSt9enable_ifIXsr15benchmark_utilsE35device_test_enabled_for_warp_size_vIXT0_EEEvE4typeEPKT_PS3_.has_indirect_call, 0
	.section	.AMDGPU.csdata,"",@progbits
; Kernel info:
; codeLenInByte = 504
; TotalNumSgprs: 19
; NumVgprs: 4
; ScratchSize: 0
; MemoryBound: 0
; FloatMode: 240
; IeeeMode: 1
; LDSByteSize: 37 bytes/workgroup (compile time only)
; SGPRBlocks: 2
; VGPRBlocks: 0
; NumSGPRsForWavesPerEU: 19
; NumVGPRsForWavesPerEU: 4
; Occupancy: 10
; WaveLimiterHint : 0
; COMPUTE_PGM_RSRC2:SCRATCH_EN: 0
; COMPUTE_PGM_RSRC2:USER_SGPR: 6
; COMPUTE_PGM_RSRC2:TRAP_HANDLER: 0
; COMPUTE_PGM_RSRC2:TGID_X_EN: 1
; COMPUTE_PGM_RSRC2:TGID_Y_EN: 0
; COMPUTE_PGM_RSRC2:TGID_Z_EN: 0
; COMPUTE_PGM_RSRC2:TIDIG_COMP_CNT: 0
	.section	.text._Z18warp_reduce_kernelIaLj61ELj100EENSt9enable_ifIXsr15benchmark_utilsE35device_test_enabled_for_warp_size_vIXT0_EEEvE4typeEPKT_PS3_,"axG",@progbits,_Z18warp_reduce_kernelIaLj61ELj100EENSt9enable_ifIXsr15benchmark_utilsE35device_test_enabled_for_warp_size_vIXT0_EEEvE4typeEPKT_PS3_,comdat
	.protected	_Z18warp_reduce_kernelIaLj61ELj100EENSt9enable_ifIXsr15benchmark_utilsE35device_test_enabled_for_warp_size_vIXT0_EEEvE4typeEPKT_PS3_ ; -- Begin function _Z18warp_reduce_kernelIaLj61ELj100EENSt9enable_ifIXsr15benchmark_utilsE35device_test_enabled_for_warp_size_vIXT0_EEEvE4typeEPKT_PS3_
	.globl	_Z18warp_reduce_kernelIaLj61ELj100EENSt9enable_ifIXsr15benchmark_utilsE35device_test_enabled_for_warp_size_vIXT0_EEEvE4typeEPKT_PS3_
	.p2align	8
	.type	_Z18warp_reduce_kernelIaLj61ELj100EENSt9enable_ifIXsr15benchmark_utilsE35device_test_enabled_for_warp_size_vIXT0_EEEvE4typeEPKT_PS3_,@function
_Z18warp_reduce_kernelIaLj61ELj100EENSt9enable_ifIXsr15benchmark_utilsE35device_test_enabled_for_warp_size_vIXT0_EEEvE4typeEPKT_PS3_: ; @_Z18warp_reduce_kernelIaLj61ELj100EENSt9enable_ifIXsr15benchmark_utilsE35device_test_enabled_for_warp_size_vIXT0_EEEvE4typeEPKT_PS3_
; %bb.0:
	s_load_dword s0, s[4:5], 0x1c
	s_load_dwordx4 s[8:11], s[4:5], 0x0
	v_mbcnt_lo_u32_b32 v1, -1, 0
	v_mbcnt_hi_u32_b32 v1, -1, v1
	s_movk_i32 s14, 0x64
	s_waitcnt lgkmcnt(0)
	s_and_b32 s0, s0, 0xffff
	s_mul_i32 s6, s6, s0
	v_add_u32_e32 v0, s6, v0
	global_load_ubyte v2, v0, s[8:9]
	s_mov_b32 s0, 0x4325c54
	v_mul_hi_u32 v3, v1, s0
	v_mul_u32_u24_e32 v3, 61, v3
	v_sub_u32_e32 v1, v1, v3
	v_cmp_gt_u32_e32 vcc, 29, v1
	v_cmp_gt_u32_e64 s[0:1], 16, v1
	v_cmp_gt_u32_e64 s[2:3], 8, v1
	;; [unrolled: 1-line block ×4, first 2 shown]
	v_cmp_eq_u32_e64 s[8:9], 0, v1
	s_branch .LBB26_2
.LBB26_1:                               ;   in Loop: Header=BB26_2 Depth=1
	s_or_b64 exec, exec, s[12:13]
	s_add_i32 s14, s14, -1
	s_cmp_eq_u32 s14, 0
	; wave barrier
	s_cbranch_scc1 .LBB26_26
.LBB26_2:                               ; =>This Inner Loop Header: Depth=1
	s_waitcnt vmcnt(0)
	ds_write_b8 v1, v2
	; wave barrier
	s_and_saveexec_b64 s[12:13], vcc
	s_cbranch_execz .LBB26_4
; %bb.3:                                ;   in Loop: Header=BB26_2 Depth=1
	ds_read_u8 v2, v1
	ds_read_u8 v3, v1 offset:32
	s_waitcnt lgkmcnt(0)
	v_add_u16_e32 v2, v3, v2
.LBB26_4:                               ;   in Loop: Header=BB26_2 Depth=1
	s_or_b64 exec, exec, s[12:13]
	; wave barrier
	s_and_saveexec_b64 s[12:13], vcc
; %bb.5:                                ;   in Loop: Header=BB26_2 Depth=1
	ds_write_b8 v1, v2
; %bb.6:                                ;   in Loop: Header=BB26_2 Depth=1
	s_or_b64 exec, exec, s[12:13]
	; wave barrier
	s_and_saveexec_b64 s[12:13], s[0:1]
	s_cbranch_execz .LBB26_8
; %bb.7:                                ;   in Loop: Header=BB26_2 Depth=1
	ds_read_u8 v2, v1
	ds_read_u8 v3, v1 offset:16
	s_waitcnt lgkmcnt(0)
	v_add_u16_e32 v2, v3, v2
.LBB26_8:                               ;   in Loop: Header=BB26_2 Depth=1
	s_or_b64 exec, exec, s[12:13]
	; wave barrier
	s_and_saveexec_b64 s[12:13], s[0:1]
; %bb.9:                                ;   in Loop: Header=BB26_2 Depth=1
	ds_write_b8 v1, v2
; %bb.10:                               ;   in Loop: Header=BB26_2 Depth=1
	s_or_b64 exec, exec, s[12:13]
	; wave barrier
	s_and_saveexec_b64 s[12:13], s[2:3]
	s_cbranch_execz .LBB26_12
; %bb.11:                               ;   in Loop: Header=BB26_2 Depth=1
	ds_read_u8 v2, v1
	ds_read_u8 v3, v1 offset:8
	s_waitcnt lgkmcnt(0)
	v_add_u16_e32 v2, v3, v2
.LBB26_12:                              ;   in Loop: Header=BB26_2 Depth=1
	s_or_b64 exec, exec, s[12:13]
	; wave barrier
	s_and_saveexec_b64 s[12:13], s[2:3]
; %bb.13:                               ;   in Loop: Header=BB26_2 Depth=1
	ds_write_b8 v1, v2
; %bb.14:                               ;   in Loop: Header=BB26_2 Depth=1
	s_or_b64 exec, exec, s[12:13]
	; wave barrier
	s_and_saveexec_b64 s[12:13], s[4:5]
	s_cbranch_execz .LBB26_16
; %bb.15:                               ;   in Loop: Header=BB26_2 Depth=1
	ds_read_u8 v2, v1
	ds_read_u8 v3, v1 offset:4
	s_waitcnt lgkmcnt(0)
	v_add_u16_e32 v2, v3, v2
.LBB26_16:                              ;   in Loop: Header=BB26_2 Depth=1
	s_or_b64 exec, exec, s[12:13]
	; wave barrier
	s_and_saveexec_b64 s[12:13], s[4:5]
; %bb.17:                               ;   in Loop: Header=BB26_2 Depth=1
	;; [unrolled: 16-line block ×3, first 2 shown]
	ds_write_b8 v1, v2
; %bb.22:                               ;   in Loop: Header=BB26_2 Depth=1
	s_or_b64 exec, exec, s[12:13]
	; wave barrier
	s_and_saveexec_b64 s[12:13], s[8:9]
	s_cbranch_execz .LBB26_24
; %bb.23:                               ;   in Loop: Header=BB26_2 Depth=1
	ds_read_u8 v2, v1
	ds_read_u8 v3, v1 offset:1
	s_waitcnt lgkmcnt(0)
	v_add_u16_e32 v2, v3, v2
.LBB26_24:                              ;   in Loop: Header=BB26_2 Depth=1
	s_or_b64 exec, exec, s[12:13]
	; wave barrier
	s_and_saveexec_b64 s[12:13], s[8:9]
	s_cbranch_execz .LBB26_1
; %bb.25:                               ;   in Loop: Header=BB26_2 Depth=1
	ds_write_b8 v1, v2
	s_branch .LBB26_1
.LBB26_26:
	v_mov_b32_e32 v1, s11
	v_add_co_u32_e32 v0, vcc, s10, v0
	v_addc_co_u32_e32 v1, vcc, 0, v1, vcc
	global_store_byte v[0:1], v2, off
	s_endpgm
	.section	.rodata,"a",@progbits
	.p2align	6, 0x0
	.amdhsa_kernel _Z18warp_reduce_kernelIaLj61ELj100EENSt9enable_ifIXsr15benchmark_utilsE35device_test_enabled_for_warp_size_vIXT0_EEEvE4typeEPKT_PS3_
		.amdhsa_group_segment_fixed_size 61
		.amdhsa_private_segment_fixed_size 0
		.amdhsa_kernarg_size 272
		.amdhsa_user_sgpr_count 6
		.amdhsa_user_sgpr_private_segment_buffer 1
		.amdhsa_user_sgpr_dispatch_ptr 0
		.amdhsa_user_sgpr_queue_ptr 0
		.amdhsa_user_sgpr_kernarg_segment_ptr 1
		.amdhsa_user_sgpr_dispatch_id 0
		.amdhsa_user_sgpr_flat_scratch_init 0
		.amdhsa_user_sgpr_private_segment_size 0
		.amdhsa_uses_dynamic_stack 0
		.amdhsa_system_sgpr_private_segment_wavefront_offset 0
		.amdhsa_system_sgpr_workgroup_id_x 1
		.amdhsa_system_sgpr_workgroup_id_y 0
		.amdhsa_system_sgpr_workgroup_id_z 0
		.amdhsa_system_sgpr_workgroup_info 0
		.amdhsa_system_vgpr_workitem_id 0
		.amdhsa_next_free_vgpr 4
		.amdhsa_next_free_sgpr 15
		.amdhsa_reserve_vcc 1
		.amdhsa_reserve_flat_scratch 0
		.amdhsa_float_round_mode_32 0
		.amdhsa_float_round_mode_16_64 0
		.amdhsa_float_denorm_mode_32 3
		.amdhsa_float_denorm_mode_16_64 3
		.amdhsa_dx10_clamp 1
		.amdhsa_ieee_mode 1
		.amdhsa_fp16_overflow 0
		.amdhsa_exception_fp_ieee_invalid_op 0
		.amdhsa_exception_fp_denorm_src 0
		.amdhsa_exception_fp_ieee_div_zero 0
		.amdhsa_exception_fp_ieee_overflow 0
		.amdhsa_exception_fp_ieee_underflow 0
		.amdhsa_exception_fp_ieee_inexact 0
		.amdhsa_exception_int_div_zero 0
	.end_amdhsa_kernel
	.section	.text._Z18warp_reduce_kernelIaLj61ELj100EENSt9enable_ifIXsr15benchmark_utilsE35device_test_enabled_for_warp_size_vIXT0_EEEvE4typeEPKT_PS3_,"axG",@progbits,_Z18warp_reduce_kernelIaLj61ELj100EENSt9enable_ifIXsr15benchmark_utilsE35device_test_enabled_for_warp_size_vIXT0_EEEvE4typeEPKT_PS3_,comdat
.Lfunc_end26:
	.size	_Z18warp_reduce_kernelIaLj61ELj100EENSt9enable_ifIXsr15benchmark_utilsE35device_test_enabled_for_warp_size_vIXT0_EEEvE4typeEPKT_PS3_, .Lfunc_end26-_Z18warp_reduce_kernelIaLj61ELj100EENSt9enable_ifIXsr15benchmark_utilsE35device_test_enabled_for_warp_size_vIXT0_EEEvE4typeEPKT_PS3_
                                        ; -- End function
	.set _Z18warp_reduce_kernelIaLj61ELj100EENSt9enable_ifIXsr15benchmark_utilsE35device_test_enabled_for_warp_size_vIXT0_EEEvE4typeEPKT_PS3_.num_vgpr, 4
	.set _Z18warp_reduce_kernelIaLj61ELj100EENSt9enable_ifIXsr15benchmark_utilsE35device_test_enabled_for_warp_size_vIXT0_EEEvE4typeEPKT_PS3_.num_agpr, 0
	.set _Z18warp_reduce_kernelIaLj61ELj100EENSt9enable_ifIXsr15benchmark_utilsE35device_test_enabled_for_warp_size_vIXT0_EEEvE4typeEPKT_PS3_.numbered_sgpr, 15
	.set _Z18warp_reduce_kernelIaLj61ELj100EENSt9enable_ifIXsr15benchmark_utilsE35device_test_enabled_for_warp_size_vIXT0_EEEvE4typeEPKT_PS3_.num_named_barrier, 0
	.set _Z18warp_reduce_kernelIaLj61ELj100EENSt9enable_ifIXsr15benchmark_utilsE35device_test_enabled_for_warp_size_vIXT0_EEEvE4typeEPKT_PS3_.private_seg_size, 0
	.set _Z18warp_reduce_kernelIaLj61ELj100EENSt9enable_ifIXsr15benchmark_utilsE35device_test_enabled_for_warp_size_vIXT0_EEEvE4typeEPKT_PS3_.uses_vcc, 1
	.set _Z18warp_reduce_kernelIaLj61ELj100EENSt9enable_ifIXsr15benchmark_utilsE35device_test_enabled_for_warp_size_vIXT0_EEEvE4typeEPKT_PS3_.uses_flat_scratch, 0
	.set _Z18warp_reduce_kernelIaLj61ELj100EENSt9enable_ifIXsr15benchmark_utilsE35device_test_enabled_for_warp_size_vIXT0_EEEvE4typeEPKT_PS3_.has_dyn_sized_stack, 0
	.set _Z18warp_reduce_kernelIaLj61ELj100EENSt9enable_ifIXsr15benchmark_utilsE35device_test_enabled_for_warp_size_vIXT0_EEEvE4typeEPKT_PS3_.has_recursion, 0
	.set _Z18warp_reduce_kernelIaLj61ELj100EENSt9enable_ifIXsr15benchmark_utilsE35device_test_enabled_for_warp_size_vIXT0_EEEvE4typeEPKT_PS3_.has_indirect_call, 0
	.section	.AMDGPU.csdata,"",@progbits
; Kernel info:
; codeLenInByte = 504
; TotalNumSgprs: 19
; NumVgprs: 4
; ScratchSize: 0
; MemoryBound: 0
; FloatMode: 240
; IeeeMode: 1
; LDSByteSize: 61 bytes/workgroup (compile time only)
; SGPRBlocks: 2
; VGPRBlocks: 0
; NumSGPRsForWavesPerEU: 19
; NumVGPRsForWavesPerEU: 4
; Occupancy: 10
; WaveLimiterHint : 0
; COMPUTE_PGM_RSRC2:SCRATCH_EN: 0
; COMPUTE_PGM_RSRC2:USER_SGPR: 6
; COMPUTE_PGM_RSRC2:TRAP_HANDLER: 0
; COMPUTE_PGM_RSRC2:TGID_X_EN: 1
; COMPUTE_PGM_RSRC2:TGID_Y_EN: 0
; COMPUTE_PGM_RSRC2:TGID_Z_EN: 0
; COMPUTE_PGM_RSRC2:TIDIG_COMP_CNT: 0
	.section	.text._Z18warp_reduce_kernelIaLj64ELj100EENSt9enable_ifIXsr15benchmark_utilsE35device_test_enabled_for_warp_size_vIXT0_EEEvE4typeEPKT_PS3_,"axG",@progbits,_Z18warp_reduce_kernelIaLj64ELj100EENSt9enable_ifIXsr15benchmark_utilsE35device_test_enabled_for_warp_size_vIXT0_EEEvE4typeEPKT_PS3_,comdat
	.protected	_Z18warp_reduce_kernelIaLj64ELj100EENSt9enable_ifIXsr15benchmark_utilsE35device_test_enabled_for_warp_size_vIXT0_EEEvE4typeEPKT_PS3_ ; -- Begin function _Z18warp_reduce_kernelIaLj64ELj100EENSt9enable_ifIXsr15benchmark_utilsE35device_test_enabled_for_warp_size_vIXT0_EEEvE4typeEPKT_PS3_
	.globl	_Z18warp_reduce_kernelIaLj64ELj100EENSt9enable_ifIXsr15benchmark_utilsE35device_test_enabled_for_warp_size_vIXT0_EEEvE4typeEPKT_PS3_
	.p2align	8
	.type	_Z18warp_reduce_kernelIaLj64ELj100EENSt9enable_ifIXsr15benchmark_utilsE35device_test_enabled_for_warp_size_vIXT0_EEEvE4typeEPKT_PS3_,@function
_Z18warp_reduce_kernelIaLj64ELj100EENSt9enable_ifIXsr15benchmark_utilsE35device_test_enabled_for_warp_size_vIXT0_EEEvE4typeEPKT_PS3_: ; @_Z18warp_reduce_kernelIaLj64ELj100EENSt9enable_ifIXsr15benchmark_utilsE35device_test_enabled_for_warp_size_vIXT0_EEEvE4typeEPKT_PS3_
; %bb.0:
	s_load_dword s7, s[4:5], 0x1c
	s_load_dwordx4 s[0:3], s[4:5], 0x0
	v_mbcnt_lo_u32_b32 v1, -1, 0
	v_mbcnt_hi_u32_b32 v1, -1, v1
	v_bfrev_b32_e32 v3, 0.5
	s_waitcnt lgkmcnt(0)
	s_and_b32 s4, s7, 0xffff
	s_mul_i32 s6, s6, s4
	v_add_u32_e32 v0, s6, v0
	global_load_ubyte v2, v0, s[0:1]
	v_lshl_or_b32 v1, v1, 2, v3
	s_movk_i32 s0, 0x64
.LBB27_1:                               ; =>This Inner Loop Header: Depth=1
	s_waitcnt vmcnt(0) lgkmcnt(0)
	v_and_b32_e32 v3, 0xff, v2
	s_add_i32 s0, s0, -1
	s_cmp_eq_u32 s0, 0
	v_mov_b32_dpp v3, v3 quad_perm:[1,0,3,2] row_mask:0xf bank_mask:0xf
	v_add_u16_e32 v2, v2, v3
	v_and_b32_e32 v3, 0xff, v2
	s_nop 1
	v_mov_b32_dpp v3, v3 quad_perm:[2,3,0,1] row_mask:0xf bank_mask:0xf
	v_add_u16_e32 v2, v2, v3
	v_and_b32_e32 v3, 0xff, v2
	s_nop 1
	v_mov_b32_dpp v3, v3 row_ror:4 row_mask:0xf bank_mask:0xf
	v_add_u16_e32 v2, v2, v3
	v_and_b32_e32 v3, 0xff, v2
	s_nop 1
	v_mov_b32_dpp v3, v3 row_ror:8 row_mask:0xf bank_mask:0xf
	v_add_u16_e32 v2, v2, v3
	v_and_b32_e32 v3, 0xff, v2
	s_nop 1
	v_mov_b32_dpp v3, v3 row_bcast:15 row_mask:0xf bank_mask:0xf
	v_add_u16_e32 v2, v2, v3
	v_and_b32_e32 v3, 0xff, v2
	s_nop 1
	v_mov_b32_dpp v3, v3 row_bcast:31 row_mask:0xf bank_mask:0xf
	v_add_u16_e32 v2, v2, v3
	v_and_b32_e32 v2, 0xff, v2
	ds_bpermute_b32 v2, v1, v2
	s_cbranch_scc0 .LBB27_1
; %bb.2:
	v_mov_b32_e32 v1, s3
	v_add_co_u32_e32 v0, vcc, s2, v0
	v_addc_co_u32_e32 v1, vcc, 0, v1, vcc
	s_waitcnt lgkmcnt(0)
	global_store_byte v[0:1], v2, off
	s_endpgm
	.section	.rodata,"a",@progbits
	.p2align	6, 0x0
	.amdhsa_kernel _Z18warp_reduce_kernelIaLj64ELj100EENSt9enable_ifIXsr15benchmark_utilsE35device_test_enabled_for_warp_size_vIXT0_EEEvE4typeEPKT_PS3_
		.amdhsa_group_segment_fixed_size 0
		.amdhsa_private_segment_fixed_size 0
		.amdhsa_kernarg_size 272
		.amdhsa_user_sgpr_count 6
		.amdhsa_user_sgpr_private_segment_buffer 1
		.amdhsa_user_sgpr_dispatch_ptr 0
		.amdhsa_user_sgpr_queue_ptr 0
		.amdhsa_user_sgpr_kernarg_segment_ptr 1
		.amdhsa_user_sgpr_dispatch_id 0
		.amdhsa_user_sgpr_flat_scratch_init 0
		.amdhsa_user_sgpr_private_segment_size 0
		.amdhsa_uses_dynamic_stack 0
		.amdhsa_system_sgpr_private_segment_wavefront_offset 0
		.amdhsa_system_sgpr_workgroup_id_x 1
		.amdhsa_system_sgpr_workgroup_id_y 0
		.amdhsa_system_sgpr_workgroup_id_z 0
		.amdhsa_system_sgpr_workgroup_info 0
		.amdhsa_system_vgpr_workitem_id 0
		.amdhsa_next_free_vgpr 4
		.amdhsa_next_free_sgpr 8
		.amdhsa_reserve_vcc 1
		.amdhsa_reserve_flat_scratch 0
		.amdhsa_float_round_mode_32 0
		.amdhsa_float_round_mode_16_64 0
		.amdhsa_float_denorm_mode_32 3
		.amdhsa_float_denorm_mode_16_64 3
		.amdhsa_dx10_clamp 1
		.amdhsa_ieee_mode 1
		.amdhsa_fp16_overflow 0
		.amdhsa_exception_fp_ieee_invalid_op 0
		.amdhsa_exception_fp_denorm_src 0
		.amdhsa_exception_fp_ieee_div_zero 0
		.amdhsa_exception_fp_ieee_overflow 0
		.amdhsa_exception_fp_ieee_underflow 0
		.amdhsa_exception_fp_ieee_inexact 0
		.amdhsa_exception_int_div_zero 0
	.end_amdhsa_kernel
	.section	.text._Z18warp_reduce_kernelIaLj64ELj100EENSt9enable_ifIXsr15benchmark_utilsE35device_test_enabled_for_warp_size_vIXT0_EEEvE4typeEPKT_PS3_,"axG",@progbits,_Z18warp_reduce_kernelIaLj64ELj100EENSt9enable_ifIXsr15benchmark_utilsE35device_test_enabled_for_warp_size_vIXT0_EEEvE4typeEPKT_PS3_,comdat
.Lfunc_end27:
	.size	_Z18warp_reduce_kernelIaLj64ELj100EENSt9enable_ifIXsr15benchmark_utilsE35device_test_enabled_for_warp_size_vIXT0_EEEvE4typeEPKT_PS3_, .Lfunc_end27-_Z18warp_reduce_kernelIaLj64ELj100EENSt9enable_ifIXsr15benchmark_utilsE35device_test_enabled_for_warp_size_vIXT0_EEEvE4typeEPKT_PS3_
                                        ; -- End function
	.set _Z18warp_reduce_kernelIaLj64ELj100EENSt9enable_ifIXsr15benchmark_utilsE35device_test_enabled_for_warp_size_vIXT0_EEEvE4typeEPKT_PS3_.num_vgpr, 4
	.set _Z18warp_reduce_kernelIaLj64ELj100EENSt9enable_ifIXsr15benchmark_utilsE35device_test_enabled_for_warp_size_vIXT0_EEEvE4typeEPKT_PS3_.num_agpr, 0
	.set _Z18warp_reduce_kernelIaLj64ELj100EENSt9enable_ifIXsr15benchmark_utilsE35device_test_enabled_for_warp_size_vIXT0_EEEvE4typeEPKT_PS3_.numbered_sgpr, 8
	.set _Z18warp_reduce_kernelIaLj64ELj100EENSt9enable_ifIXsr15benchmark_utilsE35device_test_enabled_for_warp_size_vIXT0_EEEvE4typeEPKT_PS3_.num_named_barrier, 0
	.set _Z18warp_reduce_kernelIaLj64ELj100EENSt9enable_ifIXsr15benchmark_utilsE35device_test_enabled_for_warp_size_vIXT0_EEEvE4typeEPKT_PS3_.private_seg_size, 0
	.set _Z18warp_reduce_kernelIaLj64ELj100EENSt9enable_ifIXsr15benchmark_utilsE35device_test_enabled_for_warp_size_vIXT0_EEEvE4typeEPKT_PS3_.uses_vcc, 1
	.set _Z18warp_reduce_kernelIaLj64ELj100EENSt9enable_ifIXsr15benchmark_utilsE35device_test_enabled_for_warp_size_vIXT0_EEEvE4typeEPKT_PS3_.uses_flat_scratch, 0
	.set _Z18warp_reduce_kernelIaLj64ELj100EENSt9enable_ifIXsr15benchmark_utilsE35device_test_enabled_for_warp_size_vIXT0_EEEvE4typeEPKT_PS3_.has_dyn_sized_stack, 0
	.set _Z18warp_reduce_kernelIaLj64ELj100EENSt9enable_ifIXsr15benchmark_utilsE35device_test_enabled_for_warp_size_vIXT0_EEEvE4typeEPKT_PS3_.has_recursion, 0
	.set _Z18warp_reduce_kernelIaLj64ELj100EENSt9enable_ifIXsr15benchmark_utilsE35device_test_enabled_for_warp_size_vIXT0_EEEvE4typeEPKT_PS3_.has_indirect_call, 0
	.section	.AMDGPU.csdata,"",@progbits
; Kernel info:
; codeLenInByte = 276
; TotalNumSgprs: 12
; NumVgprs: 4
; ScratchSize: 0
; MemoryBound: 0
; FloatMode: 240
; IeeeMode: 1
; LDSByteSize: 0 bytes/workgroup (compile time only)
; SGPRBlocks: 1
; VGPRBlocks: 0
; NumSGPRsForWavesPerEU: 12
; NumVGPRsForWavesPerEU: 4
; Occupancy: 10
; WaveLimiterHint : 0
; COMPUTE_PGM_RSRC2:SCRATCH_EN: 0
; COMPUTE_PGM_RSRC2:USER_SGPR: 6
; COMPUTE_PGM_RSRC2:TRAP_HANDLER: 0
; COMPUTE_PGM_RSRC2:TGID_X_EN: 1
; COMPUTE_PGM_RSRC2:TGID_Y_EN: 0
; COMPUTE_PGM_RSRC2:TGID_Z_EN: 0
; COMPUTE_PGM_RSRC2:TIDIG_COMP_CNT: 0
	.section	.text._Z18warp_reduce_kernelIhLj15ELj100EENSt9enable_ifIXsr15benchmark_utilsE35device_test_enabled_for_warp_size_vIXT0_EEEvE4typeEPKT_PS3_,"axG",@progbits,_Z18warp_reduce_kernelIhLj15ELj100EENSt9enable_ifIXsr15benchmark_utilsE35device_test_enabled_for_warp_size_vIXT0_EEEvE4typeEPKT_PS3_,comdat
	.protected	_Z18warp_reduce_kernelIhLj15ELj100EENSt9enable_ifIXsr15benchmark_utilsE35device_test_enabled_for_warp_size_vIXT0_EEEvE4typeEPKT_PS3_ ; -- Begin function _Z18warp_reduce_kernelIhLj15ELj100EENSt9enable_ifIXsr15benchmark_utilsE35device_test_enabled_for_warp_size_vIXT0_EEEvE4typeEPKT_PS3_
	.globl	_Z18warp_reduce_kernelIhLj15ELj100EENSt9enable_ifIXsr15benchmark_utilsE35device_test_enabled_for_warp_size_vIXT0_EEEvE4typeEPKT_PS3_
	.p2align	8
	.type	_Z18warp_reduce_kernelIhLj15ELj100EENSt9enable_ifIXsr15benchmark_utilsE35device_test_enabled_for_warp_size_vIXT0_EEEvE4typeEPKT_PS3_,@function
_Z18warp_reduce_kernelIhLj15ELj100EENSt9enable_ifIXsr15benchmark_utilsE35device_test_enabled_for_warp_size_vIXT0_EEEvE4typeEPKT_PS3_: ; @_Z18warp_reduce_kernelIhLj15ELj100EENSt9enable_ifIXsr15benchmark_utilsE35device_test_enabled_for_warp_size_vIXT0_EEEvE4typeEPKT_PS3_
; %bb.0:
	s_load_dword s0, s[4:5], 0x1c
	s_load_dwordx4 s[8:11], s[4:5], 0x0
	v_mbcnt_lo_u32_b32 v2, -1, 0
	v_mbcnt_hi_u32_b32 v2, -1, v2
	s_waitcnt lgkmcnt(0)
	s_and_b32 s0, s0, 0xffff
	s_mul_i32 s6, s6, s0
	v_add_u32_e32 v0, s6, v0
	global_load_ubyte v1, v0, s[8:9]
	s_mov_b32 s0, 0x11111112
	v_mul_hi_u32 v3, v2, s0
	s_movk_i32 s8, 0x64
	v_mul_u32_u24_e32 v3, 15, v3
	v_sub_u32_e32 v2, v2, v3
	v_cmp_gt_u32_e32 vcc, 7, v2
	v_cmp_gt_u32_e64 s[0:1], 4, v2
	v_cmp_gt_u32_e64 s[2:3], 2, v2
	v_cmp_eq_u32_e64 s[4:5], 0, v2
	s_branch .LBB28_2
.LBB28_1:                               ;   in Loop: Header=BB28_2 Depth=1
	s_or_b64 exec, exec, s[6:7]
	s_add_i32 s8, s8, -1
	s_cmp_eq_u32 s8, 0
	; wave barrier
	s_cbranch_scc1 .LBB28_18
.LBB28_2:                               ; =>This Inner Loop Header: Depth=1
	s_waitcnt vmcnt(0)
	ds_write_b8 v2, v1
	; wave barrier
	s_and_saveexec_b64 s[6:7], vcc
	s_cbranch_execz .LBB28_4
; %bb.3:                                ;   in Loop: Header=BB28_2 Depth=1
	ds_read_u8 v1, v2
	ds_read_u8 v3, v2 offset:8
	s_waitcnt lgkmcnt(0)
	v_add_u16_e32 v1, v3, v1
.LBB28_4:                               ;   in Loop: Header=BB28_2 Depth=1
	s_or_b64 exec, exec, s[6:7]
	; wave barrier
	s_and_saveexec_b64 s[6:7], vcc
; %bb.5:                                ;   in Loop: Header=BB28_2 Depth=1
	ds_write_b8 v2, v1
; %bb.6:                                ;   in Loop: Header=BB28_2 Depth=1
	s_or_b64 exec, exec, s[6:7]
	; wave barrier
	s_and_saveexec_b64 s[6:7], s[0:1]
	s_cbranch_execz .LBB28_8
; %bb.7:                                ;   in Loop: Header=BB28_2 Depth=1
	ds_read_u8 v1, v2
	ds_read_u8 v3, v2 offset:4
	s_waitcnt lgkmcnt(0)
	v_add_u16_e32 v1, v3, v1
.LBB28_8:                               ;   in Loop: Header=BB28_2 Depth=1
	s_or_b64 exec, exec, s[6:7]
	; wave barrier
	s_and_saveexec_b64 s[6:7], s[0:1]
; %bb.9:                                ;   in Loop: Header=BB28_2 Depth=1
	ds_write_b8 v2, v1
; %bb.10:                               ;   in Loop: Header=BB28_2 Depth=1
	s_or_b64 exec, exec, s[6:7]
	; wave barrier
	s_and_saveexec_b64 s[6:7], s[2:3]
	s_cbranch_execz .LBB28_12
; %bb.11:                               ;   in Loop: Header=BB28_2 Depth=1
	ds_read_u8 v1, v2
	ds_read_u8 v3, v2 offset:2
	s_waitcnt lgkmcnt(0)
	v_add_u16_e32 v1, v3, v1
.LBB28_12:                              ;   in Loop: Header=BB28_2 Depth=1
	s_or_b64 exec, exec, s[6:7]
	; wave barrier
	s_and_saveexec_b64 s[6:7], s[2:3]
; %bb.13:                               ;   in Loop: Header=BB28_2 Depth=1
	ds_write_b8 v2, v1
; %bb.14:                               ;   in Loop: Header=BB28_2 Depth=1
	s_or_b64 exec, exec, s[6:7]
	; wave barrier
	s_and_saveexec_b64 s[6:7], s[4:5]
	s_cbranch_execz .LBB28_16
; %bb.15:                               ;   in Loop: Header=BB28_2 Depth=1
	ds_read_u8 v1, v2
	ds_read_u8 v3, v2 offset:1
	s_waitcnt lgkmcnt(0)
	v_add_u16_e32 v1, v3, v1
.LBB28_16:                              ;   in Loop: Header=BB28_2 Depth=1
	s_or_b64 exec, exec, s[6:7]
	; wave barrier
	s_and_saveexec_b64 s[6:7], s[4:5]
	s_cbranch_execz .LBB28_1
; %bb.17:                               ;   in Loop: Header=BB28_2 Depth=1
	ds_write_b8 v2, v1
	s_branch .LBB28_1
.LBB28_18:
	v_mov_b32_e32 v3, s11
	v_add_co_u32_e32 v2, vcc, s10, v0
	v_addc_co_u32_e32 v3, vcc, 0, v3, vcc
	global_store_byte v[2:3], v1, off
	s_endpgm
	.section	.rodata,"a",@progbits
	.p2align	6, 0x0
	.amdhsa_kernel _Z18warp_reduce_kernelIhLj15ELj100EENSt9enable_ifIXsr15benchmark_utilsE35device_test_enabled_for_warp_size_vIXT0_EEEvE4typeEPKT_PS3_
		.amdhsa_group_segment_fixed_size 15
		.amdhsa_private_segment_fixed_size 0
		.amdhsa_kernarg_size 272
		.amdhsa_user_sgpr_count 6
		.amdhsa_user_sgpr_private_segment_buffer 1
		.amdhsa_user_sgpr_dispatch_ptr 0
		.amdhsa_user_sgpr_queue_ptr 0
		.amdhsa_user_sgpr_kernarg_segment_ptr 1
		.amdhsa_user_sgpr_dispatch_id 0
		.amdhsa_user_sgpr_flat_scratch_init 0
		.amdhsa_user_sgpr_private_segment_size 0
		.amdhsa_uses_dynamic_stack 0
		.amdhsa_system_sgpr_private_segment_wavefront_offset 0
		.amdhsa_system_sgpr_workgroup_id_x 1
		.amdhsa_system_sgpr_workgroup_id_y 0
		.amdhsa_system_sgpr_workgroup_id_z 0
		.amdhsa_system_sgpr_workgroup_info 0
		.amdhsa_system_vgpr_workitem_id 0
		.amdhsa_next_free_vgpr 4
		.amdhsa_next_free_sgpr 12
		.amdhsa_reserve_vcc 1
		.amdhsa_reserve_flat_scratch 0
		.amdhsa_float_round_mode_32 0
		.amdhsa_float_round_mode_16_64 0
		.amdhsa_float_denorm_mode_32 3
		.amdhsa_float_denorm_mode_16_64 3
		.amdhsa_dx10_clamp 1
		.amdhsa_ieee_mode 1
		.amdhsa_fp16_overflow 0
		.amdhsa_exception_fp_ieee_invalid_op 0
		.amdhsa_exception_fp_denorm_src 0
		.amdhsa_exception_fp_ieee_div_zero 0
		.amdhsa_exception_fp_ieee_overflow 0
		.amdhsa_exception_fp_ieee_underflow 0
		.amdhsa_exception_fp_ieee_inexact 0
		.amdhsa_exception_int_div_zero 0
	.end_amdhsa_kernel
	.section	.text._Z18warp_reduce_kernelIhLj15ELj100EENSt9enable_ifIXsr15benchmark_utilsE35device_test_enabled_for_warp_size_vIXT0_EEEvE4typeEPKT_PS3_,"axG",@progbits,_Z18warp_reduce_kernelIhLj15ELj100EENSt9enable_ifIXsr15benchmark_utilsE35device_test_enabled_for_warp_size_vIXT0_EEEvE4typeEPKT_PS3_,comdat
.Lfunc_end28:
	.size	_Z18warp_reduce_kernelIhLj15ELj100EENSt9enable_ifIXsr15benchmark_utilsE35device_test_enabled_for_warp_size_vIXT0_EEEvE4typeEPKT_PS3_, .Lfunc_end28-_Z18warp_reduce_kernelIhLj15ELj100EENSt9enable_ifIXsr15benchmark_utilsE35device_test_enabled_for_warp_size_vIXT0_EEEvE4typeEPKT_PS3_
                                        ; -- End function
	.set _Z18warp_reduce_kernelIhLj15ELj100EENSt9enable_ifIXsr15benchmark_utilsE35device_test_enabled_for_warp_size_vIXT0_EEEvE4typeEPKT_PS3_.num_vgpr, 4
	.set _Z18warp_reduce_kernelIhLj15ELj100EENSt9enable_ifIXsr15benchmark_utilsE35device_test_enabled_for_warp_size_vIXT0_EEEvE4typeEPKT_PS3_.num_agpr, 0
	.set _Z18warp_reduce_kernelIhLj15ELj100EENSt9enable_ifIXsr15benchmark_utilsE35device_test_enabled_for_warp_size_vIXT0_EEEvE4typeEPKT_PS3_.numbered_sgpr, 12
	.set _Z18warp_reduce_kernelIhLj15ELj100EENSt9enable_ifIXsr15benchmark_utilsE35device_test_enabled_for_warp_size_vIXT0_EEEvE4typeEPKT_PS3_.num_named_barrier, 0
	.set _Z18warp_reduce_kernelIhLj15ELj100EENSt9enable_ifIXsr15benchmark_utilsE35device_test_enabled_for_warp_size_vIXT0_EEEvE4typeEPKT_PS3_.private_seg_size, 0
	.set _Z18warp_reduce_kernelIhLj15ELj100EENSt9enable_ifIXsr15benchmark_utilsE35device_test_enabled_for_warp_size_vIXT0_EEEvE4typeEPKT_PS3_.uses_vcc, 1
	.set _Z18warp_reduce_kernelIhLj15ELj100EENSt9enable_ifIXsr15benchmark_utilsE35device_test_enabled_for_warp_size_vIXT0_EEEvE4typeEPKT_PS3_.uses_flat_scratch, 0
	.set _Z18warp_reduce_kernelIhLj15ELj100EENSt9enable_ifIXsr15benchmark_utilsE35device_test_enabled_for_warp_size_vIXT0_EEEvE4typeEPKT_PS3_.has_dyn_sized_stack, 0
	.set _Z18warp_reduce_kernelIhLj15ELj100EENSt9enable_ifIXsr15benchmark_utilsE35device_test_enabled_for_warp_size_vIXT0_EEEvE4typeEPKT_PS3_.has_recursion, 0
	.set _Z18warp_reduce_kernelIhLj15ELj100EENSt9enable_ifIXsr15benchmark_utilsE35device_test_enabled_for_warp_size_vIXT0_EEEvE4typeEPKT_PS3_.has_indirect_call, 0
	.section	.AMDGPU.csdata,"",@progbits
; Kernel info:
; codeLenInByte = 384
; TotalNumSgprs: 16
; NumVgprs: 4
; ScratchSize: 0
; MemoryBound: 0
; FloatMode: 240
; IeeeMode: 1
; LDSByteSize: 15 bytes/workgroup (compile time only)
; SGPRBlocks: 1
; VGPRBlocks: 0
; NumSGPRsForWavesPerEU: 16
; NumVGPRsForWavesPerEU: 4
; Occupancy: 10
; WaveLimiterHint : 0
; COMPUTE_PGM_RSRC2:SCRATCH_EN: 0
; COMPUTE_PGM_RSRC2:USER_SGPR: 6
; COMPUTE_PGM_RSRC2:TRAP_HANDLER: 0
; COMPUTE_PGM_RSRC2:TGID_X_EN: 1
; COMPUTE_PGM_RSRC2:TGID_Y_EN: 0
; COMPUTE_PGM_RSRC2:TGID_Z_EN: 0
; COMPUTE_PGM_RSRC2:TIDIG_COMP_CNT: 0
	.section	.text._Z18warp_reduce_kernelIhLj16ELj100EENSt9enable_ifIXsr15benchmark_utilsE35device_test_enabled_for_warp_size_vIXT0_EEEvE4typeEPKT_PS3_,"axG",@progbits,_Z18warp_reduce_kernelIhLj16ELj100EENSt9enable_ifIXsr15benchmark_utilsE35device_test_enabled_for_warp_size_vIXT0_EEEvE4typeEPKT_PS3_,comdat
	.protected	_Z18warp_reduce_kernelIhLj16ELj100EENSt9enable_ifIXsr15benchmark_utilsE35device_test_enabled_for_warp_size_vIXT0_EEEvE4typeEPKT_PS3_ ; -- Begin function _Z18warp_reduce_kernelIhLj16ELj100EENSt9enable_ifIXsr15benchmark_utilsE35device_test_enabled_for_warp_size_vIXT0_EEEvE4typeEPKT_PS3_
	.globl	_Z18warp_reduce_kernelIhLj16ELj100EENSt9enable_ifIXsr15benchmark_utilsE35device_test_enabled_for_warp_size_vIXT0_EEEvE4typeEPKT_PS3_
	.p2align	8
	.type	_Z18warp_reduce_kernelIhLj16ELj100EENSt9enable_ifIXsr15benchmark_utilsE35device_test_enabled_for_warp_size_vIXT0_EEEvE4typeEPKT_PS3_,@function
_Z18warp_reduce_kernelIhLj16ELj100EENSt9enable_ifIXsr15benchmark_utilsE35device_test_enabled_for_warp_size_vIXT0_EEEvE4typeEPKT_PS3_: ; @_Z18warp_reduce_kernelIhLj16ELj100EENSt9enable_ifIXsr15benchmark_utilsE35device_test_enabled_for_warp_size_vIXT0_EEEvE4typeEPKT_PS3_
; %bb.0:
	s_load_dword s7, s[4:5], 0x1c
	s_load_dwordx4 s[0:3], s[4:5], 0x0
	v_mbcnt_lo_u32_b32 v2, -1, 0
	v_mbcnt_hi_u32_b32 v5, -1, v2
	v_and_b32_e32 v4, 15, v5
	s_waitcnt lgkmcnt(0)
	s_and_b32 s4, s7, 0xffff
	s_mul_i32 s6, s6, s4
	v_add_u32_e32 v0, s6, v0
	global_load_ubyte v1, v0, s[0:1]
	v_cmp_ne_u32_e32 vcc, 15, v4
	v_addc_co_u32_e32 v2, vcc, 0, v5, vcc
	v_cmp_gt_u32_e32 vcc, 14, v4
	v_cndmask_b32_e64 v3, 0, 2, vcc
	v_cmp_gt_u32_e32 vcc, 12, v4
	v_cndmask_b32_e64 v4, 0, 4, vcc
	v_lshlrev_b32_e32 v2, 2, v2
	v_add_lshl_u32 v3, v3, v5, 2
	v_add_lshl_u32 v4, v4, v5, 2
	v_lshl_or_b32 v5, v5, 2, 32
	s_movk_i32 s0, 0x64
.LBB29_1:                               ; =>This Inner Loop Header: Depth=1
	s_waitcnt vmcnt(0)
	v_and_b32_e32 v6, 0xff, v1
	ds_bpermute_b32 v6, v2, v6
	s_add_i32 s0, s0, -1
	s_cmp_eq_u32 s0, 0
	s_waitcnt lgkmcnt(0)
	v_add_u16_e32 v1, v1, v6
	v_and_b32_e32 v6, 0xff, v1
	ds_bpermute_b32 v6, v3, v6
	s_waitcnt lgkmcnt(0)
	v_add_u16_e32 v1, v1, v6
	v_and_b32_e32 v6, 0xff, v1
	ds_bpermute_b32 v6, v4, v6
	;; [unrolled: 4-line block ×3, first 2 shown]
	s_waitcnt lgkmcnt(0)
	v_add_u16_e32 v1, v1, v6
	s_cbranch_scc0 .LBB29_1
; %bb.2:
	v_mov_b32_e32 v3, s3
	v_add_co_u32_e32 v2, vcc, s2, v0
	v_addc_co_u32_e32 v3, vcc, 0, v3, vcc
	global_store_byte v[2:3], v1, off
	s_endpgm
	.section	.rodata,"a",@progbits
	.p2align	6, 0x0
	.amdhsa_kernel _Z18warp_reduce_kernelIhLj16ELj100EENSt9enable_ifIXsr15benchmark_utilsE35device_test_enabled_for_warp_size_vIXT0_EEEvE4typeEPKT_PS3_
		.amdhsa_group_segment_fixed_size 0
		.amdhsa_private_segment_fixed_size 0
		.amdhsa_kernarg_size 272
		.amdhsa_user_sgpr_count 6
		.amdhsa_user_sgpr_private_segment_buffer 1
		.amdhsa_user_sgpr_dispatch_ptr 0
		.amdhsa_user_sgpr_queue_ptr 0
		.amdhsa_user_sgpr_kernarg_segment_ptr 1
		.amdhsa_user_sgpr_dispatch_id 0
		.amdhsa_user_sgpr_flat_scratch_init 0
		.amdhsa_user_sgpr_private_segment_size 0
		.amdhsa_uses_dynamic_stack 0
		.amdhsa_system_sgpr_private_segment_wavefront_offset 0
		.amdhsa_system_sgpr_workgroup_id_x 1
		.amdhsa_system_sgpr_workgroup_id_y 0
		.amdhsa_system_sgpr_workgroup_id_z 0
		.amdhsa_system_sgpr_workgroup_info 0
		.amdhsa_system_vgpr_workitem_id 0
		.amdhsa_next_free_vgpr 7
		.amdhsa_next_free_sgpr 8
		.amdhsa_reserve_vcc 1
		.amdhsa_reserve_flat_scratch 0
		.amdhsa_float_round_mode_32 0
		.amdhsa_float_round_mode_16_64 0
		.amdhsa_float_denorm_mode_32 3
		.amdhsa_float_denorm_mode_16_64 3
		.amdhsa_dx10_clamp 1
		.amdhsa_ieee_mode 1
		.amdhsa_fp16_overflow 0
		.amdhsa_exception_fp_ieee_invalid_op 0
		.amdhsa_exception_fp_denorm_src 0
		.amdhsa_exception_fp_ieee_div_zero 0
		.amdhsa_exception_fp_ieee_overflow 0
		.amdhsa_exception_fp_ieee_underflow 0
		.amdhsa_exception_fp_ieee_inexact 0
		.amdhsa_exception_int_div_zero 0
	.end_amdhsa_kernel
	.section	.text._Z18warp_reduce_kernelIhLj16ELj100EENSt9enable_ifIXsr15benchmark_utilsE35device_test_enabled_for_warp_size_vIXT0_EEEvE4typeEPKT_PS3_,"axG",@progbits,_Z18warp_reduce_kernelIhLj16ELj100EENSt9enable_ifIXsr15benchmark_utilsE35device_test_enabled_for_warp_size_vIXT0_EEEvE4typeEPKT_PS3_,comdat
.Lfunc_end29:
	.size	_Z18warp_reduce_kernelIhLj16ELj100EENSt9enable_ifIXsr15benchmark_utilsE35device_test_enabled_for_warp_size_vIXT0_EEEvE4typeEPKT_PS3_, .Lfunc_end29-_Z18warp_reduce_kernelIhLj16ELj100EENSt9enable_ifIXsr15benchmark_utilsE35device_test_enabled_for_warp_size_vIXT0_EEEvE4typeEPKT_PS3_
                                        ; -- End function
	.set _Z18warp_reduce_kernelIhLj16ELj100EENSt9enable_ifIXsr15benchmark_utilsE35device_test_enabled_for_warp_size_vIXT0_EEEvE4typeEPKT_PS3_.num_vgpr, 7
	.set _Z18warp_reduce_kernelIhLj16ELj100EENSt9enable_ifIXsr15benchmark_utilsE35device_test_enabled_for_warp_size_vIXT0_EEEvE4typeEPKT_PS3_.num_agpr, 0
	.set _Z18warp_reduce_kernelIhLj16ELj100EENSt9enable_ifIXsr15benchmark_utilsE35device_test_enabled_for_warp_size_vIXT0_EEEvE4typeEPKT_PS3_.numbered_sgpr, 8
	.set _Z18warp_reduce_kernelIhLj16ELj100EENSt9enable_ifIXsr15benchmark_utilsE35device_test_enabled_for_warp_size_vIXT0_EEEvE4typeEPKT_PS3_.num_named_barrier, 0
	.set _Z18warp_reduce_kernelIhLj16ELj100EENSt9enable_ifIXsr15benchmark_utilsE35device_test_enabled_for_warp_size_vIXT0_EEEvE4typeEPKT_PS3_.private_seg_size, 0
	.set _Z18warp_reduce_kernelIhLj16ELj100EENSt9enable_ifIXsr15benchmark_utilsE35device_test_enabled_for_warp_size_vIXT0_EEEvE4typeEPKT_PS3_.uses_vcc, 1
	.set _Z18warp_reduce_kernelIhLj16ELj100EENSt9enable_ifIXsr15benchmark_utilsE35device_test_enabled_for_warp_size_vIXT0_EEEvE4typeEPKT_PS3_.uses_flat_scratch, 0
	.set _Z18warp_reduce_kernelIhLj16ELj100EENSt9enable_ifIXsr15benchmark_utilsE35device_test_enabled_for_warp_size_vIXT0_EEEvE4typeEPKT_PS3_.has_dyn_sized_stack, 0
	.set _Z18warp_reduce_kernelIhLj16ELj100EENSt9enable_ifIXsr15benchmark_utilsE35device_test_enabled_for_warp_size_vIXT0_EEEvE4typeEPKT_PS3_.has_recursion, 0
	.set _Z18warp_reduce_kernelIhLj16ELj100EENSt9enable_ifIXsr15benchmark_utilsE35device_test_enabled_for_warp_size_vIXT0_EEEvE4typeEPKT_PS3_.has_indirect_call, 0
	.section	.AMDGPU.csdata,"",@progbits
; Kernel info:
; codeLenInByte = 264
; TotalNumSgprs: 12
; NumVgprs: 7
; ScratchSize: 0
; MemoryBound: 0
; FloatMode: 240
; IeeeMode: 1
; LDSByteSize: 0 bytes/workgroup (compile time only)
; SGPRBlocks: 1
; VGPRBlocks: 1
; NumSGPRsForWavesPerEU: 12
; NumVGPRsForWavesPerEU: 7
; Occupancy: 10
; WaveLimiterHint : 0
; COMPUTE_PGM_RSRC2:SCRATCH_EN: 0
; COMPUTE_PGM_RSRC2:USER_SGPR: 6
; COMPUTE_PGM_RSRC2:TRAP_HANDLER: 0
; COMPUTE_PGM_RSRC2:TGID_X_EN: 1
; COMPUTE_PGM_RSRC2:TGID_Y_EN: 0
; COMPUTE_PGM_RSRC2:TGID_Z_EN: 0
; COMPUTE_PGM_RSRC2:TIDIG_COMP_CNT: 0
	.section	.text._Z18warp_reduce_kernelIhLj31ELj100EENSt9enable_ifIXsr15benchmark_utilsE35device_test_enabled_for_warp_size_vIXT0_EEEvE4typeEPKT_PS3_,"axG",@progbits,_Z18warp_reduce_kernelIhLj31ELj100EENSt9enable_ifIXsr15benchmark_utilsE35device_test_enabled_for_warp_size_vIXT0_EEEvE4typeEPKT_PS3_,comdat
	.protected	_Z18warp_reduce_kernelIhLj31ELj100EENSt9enable_ifIXsr15benchmark_utilsE35device_test_enabled_for_warp_size_vIXT0_EEEvE4typeEPKT_PS3_ ; -- Begin function _Z18warp_reduce_kernelIhLj31ELj100EENSt9enable_ifIXsr15benchmark_utilsE35device_test_enabled_for_warp_size_vIXT0_EEEvE4typeEPKT_PS3_
	.globl	_Z18warp_reduce_kernelIhLj31ELj100EENSt9enable_ifIXsr15benchmark_utilsE35device_test_enabled_for_warp_size_vIXT0_EEEvE4typeEPKT_PS3_
	.p2align	8
	.type	_Z18warp_reduce_kernelIhLj31ELj100EENSt9enable_ifIXsr15benchmark_utilsE35device_test_enabled_for_warp_size_vIXT0_EEEvE4typeEPKT_PS3_,@function
_Z18warp_reduce_kernelIhLj31ELj100EENSt9enable_ifIXsr15benchmark_utilsE35device_test_enabled_for_warp_size_vIXT0_EEEvE4typeEPKT_PS3_: ; @_Z18warp_reduce_kernelIhLj31ELj100EENSt9enable_ifIXsr15benchmark_utilsE35device_test_enabled_for_warp_size_vIXT0_EEEvE4typeEPKT_PS3_
; %bb.0:
	s_load_dword s0, s[4:5], 0x1c
	s_load_dwordx4 s[8:11], s[4:5], 0x0
	v_mbcnt_lo_u32_b32 v1, -1, 0
	v_mbcnt_hi_u32_b32 v1, -1, v1
	s_movk_i32 s12, 0x64
	s_waitcnt lgkmcnt(0)
	s_and_b32 s0, s0, 0xffff
	s_mul_i32 s6, s6, s0
	v_add_u32_e32 v0, s6, v0
	global_load_ubyte v2, v0, s[8:9]
	s_mov_b32 s0, 0x8421085
	v_mul_hi_u32 v3, v1, s0
	v_mul_u32_u24_e32 v3, 31, v3
	v_sub_u32_e32 v1, v1, v3
	v_cmp_gt_u32_e32 vcc, 15, v1
	v_cmp_gt_u32_e64 s[0:1], 8, v1
	v_cmp_gt_u32_e64 s[2:3], 4, v1
	;; [unrolled: 1-line block ×3, first 2 shown]
	v_cmp_eq_u32_e64 s[6:7], 0, v1
	s_branch .LBB30_2
.LBB30_1:                               ;   in Loop: Header=BB30_2 Depth=1
	s_or_b64 exec, exec, s[8:9]
	s_add_i32 s12, s12, -1
	s_cmp_eq_u32 s12, 0
	; wave barrier
	s_cbranch_scc1 .LBB30_22
.LBB30_2:                               ; =>This Inner Loop Header: Depth=1
	s_waitcnt vmcnt(0)
	ds_write_b8 v1, v2
	; wave barrier
	s_and_saveexec_b64 s[8:9], vcc
	s_cbranch_execz .LBB30_4
; %bb.3:                                ;   in Loop: Header=BB30_2 Depth=1
	ds_read_u8 v2, v1
	ds_read_u8 v3, v1 offset:16
	s_waitcnt lgkmcnt(0)
	v_add_u16_e32 v2, v3, v2
.LBB30_4:                               ;   in Loop: Header=BB30_2 Depth=1
	s_or_b64 exec, exec, s[8:9]
	; wave barrier
	s_and_saveexec_b64 s[8:9], vcc
; %bb.5:                                ;   in Loop: Header=BB30_2 Depth=1
	ds_write_b8 v1, v2
; %bb.6:                                ;   in Loop: Header=BB30_2 Depth=1
	s_or_b64 exec, exec, s[8:9]
	; wave barrier
	s_and_saveexec_b64 s[8:9], s[0:1]
	s_cbranch_execz .LBB30_8
; %bb.7:                                ;   in Loop: Header=BB30_2 Depth=1
	ds_read_u8 v2, v1
	ds_read_u8 v3, v1 offset:8
	s_waitcnt lgkmcnt(0)
	v_add_u16_e32 v2, v3, v2
.LBB30_8:                               ;   in Loop: Header=BB30_2 Depth=1
	s_or_b64 exec, exec, s[8:9]
	; wave barrier
	s_and_saveexec_b64 s[8:9], s[0:1]
; %bb.9:                                ;   in Loop: Header=BB30_2 Depth=1
	ds_write_b8 v1, v2
; %bb.10:                               ;   in Loop: Header=BB30_2 Depth=1
	s_or_b64 exec, exec, s[8:9]
	; wave barrier
	s_and_saveexec_b64 s[8:9], s[2:3]
	s_cbranch_execz .LBB30_12
; %bb.11:                               ;   in Loop: Header=BB30_2 Depth=1
	ds_read_u8 v2, v1
	ds_read_u8 v3, v1 offset:4
	s_waitcnt lgkmcnt(0)
	v_add_u16_e32 v2, v3, v2
.LBB30_12:                              ;   in Loop: Header=BB30_2 Depth=1
	s_or_b64 exec, exec, s[8:9]
	; wave barrier
	s_and_saveexec_b64 s[8:9], s[2:3]
; %bb.13:                               ;   in Loop: Header=BB30_2 Depth=1
	ds_write_b8 v1, v2
; %bb.14:                               ;   in Loop: Header=BB30_2 Depth=1
	s_or_b64 exec, exec, s[8:9]
	; wave barrier
	s_and_saveexec_b64 s[8:9], s[4:5]
	s_cbranch_execz .LBB30_16
; %bb.15:                               ;   in Loop: Header=BB30_2 Depth=1
	ds_read_u8 v2, v1
	ds_read_u8 v3, v1 offset:2
	s_waitcnt lgkmcnt(0)
	v_add_u16_e32 v2, v3, v2
.LBB30_16:                              ;   in Loop: Header=BB30_2 Depth=1
	s_or_b64 exec, exec, s[8:9]
	; wave barrier
	s_and_saveexec_b64 s[8:9], s[4:5]
; %bb.17:                               ;   in Loop: Header=BB30_2 Depth=1
	ds_write_b8 v1, v2
; %bb.18:                               ;   in Loop: Header=BB30_2 Depth=1
	s_or_b64 exec, exec, s[8:9]
	; wave barrier
	s_and_saveexec_b64 s[8:9], s[6:7]
	s_cbranch_execz .LBB30_20
; %bb.19:                               ;   in Loop: Header=BB30_2 Depth=1
	ds_read_u8 v2, v1
	ds_read_u8 v3, v1 offset:1
	s_waitcnt lgkmcnt(0)
	v_add_u16_e32 v2, v3, v2
.LBB30_20:                              ;   in Loop: Header=BB30_2 Depth=1
	s_or_b64 exec, exec, s[8:9]
	; wave barrier
	s_and_saveexec_b64 s[8:9], s[6:7]
	s_cbranch_execz .LBB30_1
; %bb.21:                               ;   in Loop: Header=BB30_2 Depth=1
	ds_write_b8 v1, v2
	s_branch .LBB30_1
.LBB30_22:
	v_mov_b32_e32 v1, s11
	v_add_co_u32_e32 v0, vcc, s10, v0
	v_addc_co_u32_e32 v1, vcc, 0, v1, vcc
	global_store_byte v[0:1], v2, off
	s_endpgm
	.section	.rodata,"a",@progbits
	.p2align	6, 0x0
	.amdhsa_kernel _Z18warp_reduce_kernelIhLj31ELj100EENSt9enable_ifIXsr15benchmark_utilsE35device_test_enabled_for_warp_size_vIXT0_EEEvE4typeEPKT_PS3_
		.amdhsa_group_segment_fixed_size 31
		.amdhsa_private_segment_fixed_size 0
		.amdhsa_kernarg_size 272
		.amdhsa_user_sgpr_count 6
		.amdhsa_user_sgpr_private_segment_buffer 1
		.amdhsa_user_sgpr_dispatch_ptr 0
		.amdhsa_user_sgpr_queue_ptr 0
		.amdhsa_user_sgpr_kernarg_segment_ptr 1
		.amdhsa_user_sgpr_dispatch_id 0
		.amdhsa_user_sgpr_flat_scratch_init 0
		.amdhsa_user_sgpr_private_segment_size 0
		.amdhsa_uses_dynamic_stack 0
		.amdhsa_system_sgpr_private_segment_wavefront_offset 0
		.amdhsa_system_sgpr_workgroup_id_x 1
		.amdhsa_system_sgpr_workgroup_id_y 0
		.amdhsa_system_sgpr_workgroup_id_z 0
		.amdhsa_system_sgpr_workgroup_info 0
		.amdhsa_system_vgpr_workitem_id 0
		.amdhsa_next_free_vgpr 4
		.amdhsa_next_free_sgpr 13
		.amdhsa_reserve_vcc 1
		.amdhsa_reserve_flat_scratch 0
		.amdhsa_float_round_mode_32 0
		.amdhsa_float_round_mode_16_64 0
		.amdhsa_float_denorm_mode_32 3
		.amdhsa_float_denorm_mode_16_64 3
		.amdhsa_dx10_clamp 1
		.amdhsa_ieee_mode 1
		.amdhsa_fp16_overflow 0
		.amdhsa_exception_fp_ieee_invalid_op 0
		.amdhsa_exception_fp_denorm_src 0
		.amdhsa_exception_fp_ieee_div_zero 0
		.amdhsa_exception_fp_ieee_overflow 0
		.amdhsa_exception_fp_ieee_underflow 0
		.amdhsa_exception_fp_ieee_inexact 0
		.amdhsa_exception_int_div_zero 0
	.end_amdhsa_kernel
	.section	.text._Z18warp_reduce_kernelIhLj31ELj100EENSt9enable_ifIXsr15benchmark_utilsE35device_test_enabled_for_warp_size_vIXT0_EEEvE4typeEPKT_PS3_,"axG",@progbits,_Z18warp_reduce_kernelIhLj31ELj100EENSt9enable_ifIXsr15benchmark_utilsE35device_test_enabled_for_warp_size_vIXT0_EEEvE4typeEPKT_PS3_,comdat
.Lfunc_end30:
	.size	_Z18warp_reduce_kernelIhLj31ELj100EENSt9enable_ifIXsr15benchmark_utilsE35device_test_enabled_for_warp_size_vIXT0_EEEvE4typeEPKT_PS3_, .Lfunc_end30-_Z18warp_reduce_kernelIhLj31ELj100EENSt9enable_ifIXsr15benchmark_utilsE35device_test_enabled_for_warp_size_vIXT0_EEEvE4typeEPKT_PS3_
                                        ; -- End function
	.set _Z18warp_reduce_kernelIhLj31ELj100EENSt9enable_ifIXsr15benchmark_utilsE35device_test_enabled_for_warp_size_vIXT0_EEEvE4typeEPKT_PS3_.num_vgpr, 4
	.set _Z18warp_reduce_kernelIhLj31ELj100EENSt9enable_ifIXsr15benchmark_utilsE35device_test_enabled_for_warp_size_vIXT0_EEEvE4typeEPKT_PS3_.num_agpr, 0
	.set _Z18warp_reduce_kernelIhLj31ELj100EENSt9enable_ifIXsr15benchmark_utilsE35device_test_enabled_for_warp_size_vIXT0_EEEvE4typeEPKT_PS3_.numbered_sgpr, 13
	.set _Z18warp_reduce_kernelIhLj31ELj100EENSt9enable_ifIXsr15benchmark_utilsE35device_test_enabled_for_warp_size_vIXT0_EEEvE4typeEPKT_PS3_.num_named_barrier, 0
	.set _Z18warp_reduce_kernelIhLj31ELj100EENSt9enable_ifIXsr15benchmark_utilsE35device_test_enabled_for_warp_size_vIXT0_EEEvE4typeEPKT_PS3_.private_seg_size, 0
	.set _Z18warp_reduce_kernelIhLj31ELj100EENSt9enable_ifIXsr15benchmark_utilsE35device_test_enabled_for_warp_size_vIXT0_EEEvE4typeEPKT_PS3_.uses_vcc, 1
	.set _Z18warp_reduce_kernelIhLj31ELj100EENSt9enable_ifIXsr15benchmark_utilsE35device_test_enabled_for_warp_size_vIXT0_EEEvE4typeEPKT_PS3_.uses_flat_scratch, 0
	.set _Z18warp_reduce_kernelIhLj31ELj100EENSt9enable_ifIXsr15benchmark_utilsE35device_test_enabled_for_warp_size_vIXT0_EEEvE4typeEPKT_PS3_.has_dyn_sized_stack, 0
	.set _Z18warp_reduce_kernelIhLj31ELj100EENSt9enable_ifIXsr15benchmark_utilsE35device_test_enabled_for_warp_size_vIXT0_EEEvE4typeEPKT_PS3_.has_recursion, 0
	.set _Z18warp_reduce_kernelIhLj31ELj100EENSt9enable_ifIXsr15benchmark_utilsE35device_test_enabled_for_warp_size_vIXT0_EEEvE4typeEPKT_PS3_.has_indirect_call, 0
	.section	.AMDGPU.csdata,"",@progbits
; Kernel info:
; codeLenInByte = 444
; TotalNumSgprs: 17
; NumVgprs: 4
; ScratchSize: 0
; MemoryBound: 0
; FloatMode: 240
; IeeeMode: 1
; LDSByteSize: 31 bytes/workgroup (compile time only)
; SGPRBlocks: 2
; VGPRBlocks: 0
; NumSGPRsForWavesPerEU: 17
; NumVGPRsForWavesPerEU: 4
; Occupancy: 10
; WaveLimiterHint : 0
; COMPUTE_PGM_RSRC2:SCRATCH_EN: 0
; COMPUTE_PGM_RSRC2:USER_SGPR: 6
; COMPUTE_PGM_RSRC2:TRAP_HANDLER: 0
; COMPUTE_PGM_RSRC2:TGID_X_EN: 1
; COMPUTE_PGM_RSRC2:TGID_Y_EN: 0
; COMPUTE_PGM_RSRC2:TGID_Z_EN: 0
; COMPUTE_PGM_RSRC2:TIDIG_COMP_CNT: 0
	.section	.text._Z18warp_reduce_kernelIhLj32ELj100EENSt9enable_ifIXsr15benchmark_utilsE35device_test_enabled_for_warp_size_vIXT0_EEEvE4typeEPKT_PS3_,"axG",@progbits,_Z18warp_reduce_kernelIhLj32ELj100EENSt9enable_ifIXsr15benchmark_utilsE35device_test_enabled_for_warp_size_vIXT0_EEEvE4typeEPKT_PS3_,comdat
	.protected	_Z18warp_reduce_kernelIhLj32ELj100EENSt9enable_ifIXsr15benchmark_utilsE35device_test_enabled_for_warp_size_vIXT0_EEEvE4typeEPKT_PS3_ ; -- Begin function _Z18warp_reduce_kernelIhLj32ELj100EENSt9enable_ifIXsr15benchmark_utilsE35device_test_enabled_for_warp_size_vIXT0_EEEvE4typeEPKT_PS3_
	.globl	_Z18warp_reduce_kernelIhLj32ELj100EENSt9enable_ifIXsr15benchmark_utilsE35device_test_enabled_for_warp_size_vIXT0_EEEvE4typeEPKT_PS3_
	.p2align	8
	.type	_Z18warp_reduce_kernelIhLj32ELj100EENSt9enable_ifIXsr15benchmark_utilsE35device_test_enabled_for_warp_size_vIXT0_EEEvE4typeEPKT_PS3_,@function
_Z18warp_reduce_kernelIhLj32ELj100EENSt9enable_ifIXsr15benchmark_utilsE35device_test_enabled_for_warp_size_vIXT0_EEEvE4typeEPKT_PS3_: ; @_Z18warp_reduce_kernelIhLj32ELj100EENSt9enable_ifIXsr15benchmark_utilsE35device_test_enabled_for_warp_size_vIXT0_EEEvE4typeEPKT_PS3_
; %bb.0:
	s_load_dword s7, s[4:5], 0x1c
	s_load_dwordx4 s[0:3], s[4:5], 0x0
	v_mbcnt_lo_u32_b32 v1, -1, 0
	v_mbcnt_hi_u32_b32 v6, -1, v1
	v_and_b32_e32 v5, 31, v6
	s_waitcnt lgkmcnt(0)
	s_and_b32 s4, s7, 0xffff
	s_mul_i32 s6, s6, s4
	v_add_u32_e32 v0, s6, v0
	global_load_ubyte v2, v0, s[0:1]
	v_cmp_ne_u32_e32 vcc, 31, v5
	v_addc_co_u32_e32 v1, vcc, 0, v6, vcc
	v_cmp_gt_u32_e32 vcc, 30, v5
	v_cndmask_b32_e64 v3, 0, 2, vcc
	v_cmp_gt_u32_e32 vcc, 28, v5
	v_cndmask_b32_e64 v4, 0, 4, vcc
	;; [unrolled: 2-line block ×3, first 2 shown]
	v_lshlrev_b32_e32 v1, 2, v1
	v_add_lshl_u32 v3, v3, v6, 2
	v_add_lshl_u32 v4, v4, v6, 2
	;; [unrolled: 1-line block ×3, first 2 shown]
	v_lshl_or_b32 v6, v6, 2, 64
	s_movk_i32 s0, 0x64
.LBB31_1:                               ; =>This Inner Loop Header: Depth=1
	s_waitcnt vmcnt(0)
	v_and_b32_e32 v7, 0xff, v2
	ds_bpermute_b32 v7, v1, v7
	s_add_i32 s0, s0, -1
	s_cmp_eq_u32 s0, 0
	s_waitcnt lgkmcnt(0)
	v_add_u16_e32 v2, v2, v7
	v_and_b32_e32 v7, 0xff, v2
	ds_bpermute_b32 v7, v3, v7
	s_waitcnt lgkmcnt(0)
	v_add_u16_e32 v2, v2, v7
	v_and_b32_e32 v7, 0xff, v2
	ds_bpermute_b32 v7, v4, v7
	;; [unrolled: 4-line block ×4, first 2 shown]
	s_waitcnt lgkmcnt(0)
	v_add_u16_e32 v2, v2, v7
	s_cbranch_scc0 .LBB31_1
; %bb.2:
	v_mov_b32_e32 v1, s3
	v_add_co_u32_e32 v0, vcc, s2, v0
	v_addc_co_u32_e32 v1, vcc, 0, v1, vcc
	global_store_byte v[0:1], v2, off
	s_endpgm
	.section	.rodata,"a",@progbits
	.p2align	6, 0x0
	.amdhsa_kernel _Z18warp_reduce_kernelIhLj32ELj100EENSt9enable_ifIXsr15benchmark_utilsE35device_test_enabled_for_warp_size_vIXT0_EEEvE4typeEPKT_PS3_
		.amdhsa_group_segment_fixed_size 0
		.amdhsa_private_segment_fixed_size 0
		.amdhsa_kernarg_size 272
		.amdhsa_user_sgpr_count 6
		.amdhsa_user_sgpr_private_segment_buffer 1
		.amdhsa_user_sgpr_dispatch_ptr 0
		.amdhsa_user_sgpr_queue_ptr 0
		.amdhsa_user_sgpr_kernarg_segment_ptr 1
		.amdhsa_user_sgpr_dispatch_id 0
		.amdhsa_user_sgpr_flat_scratch_init 0
		.amdhsa_user_sgpr_private_segment_size 0
		.amdhsa_uses_dynamic_stack 0
		.amdhsa_system_sgpr_private_segment_wavefront_offset 0
		.amdhsa_system_sgpr_workgroup_id_x 1
		.amdhsa_system_sgpr_workgroup_id_y 0
		.amdhsa_system_sgpr_workgroup_id_z 0
		.amdhsa_system_sgpr_workgroup_info 0
		.amdhsa_system_vgpr_workitem_id 0
		.amdhsa_next_free_vgpr 8
		.amdhsa_next_free_sgpr 8
		.amdhsa_reserve_vcc 1
		.amdhsa_reserve_flat_scratch 0
		.amdhsa_float_round_mode_32 0
		.amdhsa_float_round_mode_16_64 0
		.amdhsa_float_denorm_mode_32 3
		.amdhsa_float_denorm_mode_16_64 3
		.amdhsa_dx10_clamp 1
		.amdhsa_ieee_mode 1
		.amdhsa_fp16_overflow 0
		.amdhsa_exception_fp_ieee_invalid_op 0
		.amdhsa_exception_fp_denorm_src 0
		.amdhsa_exception_fp_ieee_div_zero 0
		.amdhsa_exception_fp_ieee_overflow 0
		.amdhsa_exception_fp_ieee_underflow 0
		.amdhsa_exception_fp_ieee_inexact 0
		.amdhsa_exception_int_div_zero 0
	.end_amdhsa_kernel
	.section	.text._Z18warp_reduce_kernelIhLj32ELj100EENSt9enable_ifIXsr15benchmark_utilsE35device_test_enabled_for_warp_size_vIXT0_EEEvE4typeEPKT_PS3_,"axG",@progbits,_Z18warp_reduce_kernelIhLj32ELj100EENSt9enable_ifIXsr15benchmark_utilsE35device_test_enabled_for_warp_size_vIXT0_EEEvE4typeEPKT_PS3_,comdat
.Lfunc_end31:
	.size	_Z18warp_reduce_kernelIhLj32ELj100EENSt9enable_ifIXsr15benchmark_utilsE35device_test_enabled_for_warp_size_vIXT0_EEEvE4typeEPKT_PS3_, .Lfunc_end31-_Z18warp_reduce_kernelIhLj32ELj100EENSt9enable_ifIXsr15benchmark_utilsE35device_test_enabled_for_warp_size_vIXT0_EEEvE4typeEPKT_PS3_
                                        ; -- End function
	.set _Z18warp_reduce_kernelIhLj32ELj100EENSt9enable_ifIXsr15benchmark_utilsE35device_test_enabled_for_warp_size_vIXT0_EEEvE4typeEPKT_PS3_.num_vgpr, 8
	.set _Z18warp_reduce_kernelIhLj32ELj100EENSt9enable_ifIXsr15benchmark_utilsE35device_test_enabled_for_warp_size_vIXT0_EEEvE4typeEPKT_PS3_.num_agpr, 0
	.set _Z18warp_reduce_kernelIhLj32ELj100EENSt9enable_ifIXsr15benchmark_utilsE35device_test_enabled_for_warp_size_vIXT0_EEEvE4typeEPKT_PS3_.numbered_sgpr, 8
	.set _Z18warp_reduce_kernelIhLj32ELj100EENSt9enable_ifIXsr15benchmark_utilsE35device_test_enabled_for_warp_size_vIXT0_EEEvE4typeEPKT_PS3_.num_named_barrier, 0
	.set _Z18warp_reduce_kernelIhLj32ELj100EENSt9enable_ifIXsr15benchmark_utilsE35device_test_enabled_for_warp_size_vIXT0_EEEvE4typeEPKT_PS3_.private_seg_size, 0
	.set _Z18warp_reduce_kernelIhLj32ELj100EENSt9enable_ifIXsr15benchmark_utilsE35device_test_enabled_for_warp_size_vIXT0_EEEvE4typeEPKT_PS3_.uses_vcc, 1
	.set _Z18warp_reduce_kernelIhLj32ELj100EENSt9enable_ifIXsr15benchmark_utilsE35device_test_enabled_for_warp_size_vIXT0_EEEvE4typeEPKT_PS3_.uses_flat_scratch, 0
	.set _Z18warp_reduce_kernelIhLj32ELj100EENSt9enable_ifIXsr15benchmark_utilsE35device_test_enabled_for_warp_size_vIXT0_EEEvE4typeEPKT_PS3_.has_dyn_sized_stack, 0
	.set _Z18warp_reduce_kernelIhLj32ELj100EENSt9enable_ifIXsr15benchmark_utilsE35device_test_enabled_for_warp_size_vIXT0_EEEvE4typeEPKT_PS3_.has_recursion, 0
	.set _Z18warp_reduce_kernelIhLj32ELj100EENSt9enable_ifIXsr15benchmark_utilsE35device_test_enabled_for_warp_size_vIXT0_EEEvE4typeEPKT_PS3_.has_indirect_call, 0
	.section	.AMDGPU.csdata,"",@progbits
; Kernel info:
; codeLenInByte = 308
; TotalNumSgprs: 12
; NumVgprs: 8
; ScratchSize: 0
; MemoryBound: 0
; FloatMode: 240
; IeeeMode: 1
; LDSByteSize: 0 bytes/workgroup (compile time only)
; SGPRBlocks: 1
; VGPRBlocks: 1
; NumSGPRsForWavesPerEU: 12
; NumVGPRsForWavesPerEU: 8
; Occupancy: 10
; WaveLimiterHint : 0
; COMPUTE_PGM_RSRC2:SCRATCH_EN: 0
; COMPUTE_PGM_RSRC2:USER_SGPR: 6
; COMPUTE_PGM_RSRC2:TRAP_HANDLER: 0
; COMPUTE_PGM_RSRC2:TGID_X_EN: 1
; COMPUTE_PGM_RSRC2:TGID_Y_EN: 0
; COMPUTE_PGM_RSRC2:TGID_Z_EN: 0
; COMPUTE_PGM_RSRC2:TIDIG_COMP_CNT: 0
	.section	.text._Z18warp_reduce_kernelIhLj37ELj100EENSt9enable_ifIXsr15benchmark_utilsE35device_test_enabled_for_warp_size_vIXT0_EEEvE4typeEPKT_PS3_,"axG",@progbits,_Z18warp_reduce_kernelIhLj37ELj100EENSt9enable_ifIXsr15benchmark_utilsE35device_test_enabled_for_warp_size_vIXT0_EEEvE4typeEPKT_PS3_,comdat
	.protected	_Z18warp_reduce_kernelIhLj37ELj100EENSt9enable_ifIXsr15benchmark_utilsE35device_test_enabled_for_warp_size_vIXT0_EEEvE4typeEPKT_PS3_ ; -- Begin function _Z18warp_reduce_kernelIhLj37ELj100EENSt9enable_ifIXsr15benchmark_utilsE35device_test_enabled_for_warp_size_vIXT0_EEEvE4typeEPKT_PS3_
	.globl	_Z18warp_reduce_kernelIhLj37ELj100EENSt9enable_ifIXsr15benchmark_utilsE35device_test_enabled_for_warp_size_vIXT0_EEEvE4typeEPKT_PS3_
	.p2align	8
	.type	_Z18warp_reduce_kernelIhLj37ELj100EENSt9enable_ifIXsr15benchmark_utilsE35device_test_enabled_for_warp_size_vIXT0_EEEvE4typeEPKT_PS3_,@function
_Z18warp_reduce_kernelIhLj37ELj100EENSt9enable_ifIXsr15benchmark_utilsE35device_test_enabled_for_warp_size_vIXT0_EEEvE4typeEPKT_PS3_: ; @_Z18warp_reduce_kernelIhLj37ELj100EENSt9enable_ifIXsr15benchmark_utilsE35device_test_enabled_for_warp_size_vIXT0_EEEvE4typeEPKT_PS3_
; %bb.0:
	s_load_dword s0, s[4:5], 0x1c
	s_load_dwordx4 s[8:11], s[4:5], 0x0
	v_mbcnt_lo_u32_b32 v1, -1, 0
	v_mbcnt_hi_u32_b32 v1, -1, v1
	s_movk_i32 s14, 0x64
	s_waitcnt lgkmcnt(0)
	s_and_b32 s0, s0, 0xffff
	s_mul_i32 s6, s6, s0
	v_add_u32_e32 v0, s6, v0
	global_load_ubyte v2, v0, s[8:9]
	s_mov_b32 s0, 0x6eb3e46
	v_mul_hi_u32 v3, v1, s0
	v_mul_u32_u24_e32 v3, 37, v3
	v_sub_u32_e32 v1, v1, v3
	v_cmp_gt_u32_e32 vcc, 5, v1
	v_cmp_gt_u32_e64 s[0:1], 16, v1
	v_cmp_gt_u32_e64 s[2:3], 8, v1
	;; [unrolled: 1-line block ×4, first 2 shown]
	v_cmp_eq_u32_e64 s[8:9], 0, v1
	s_branch .LBB32_2
.LBB32_1:                               ;   in Loop: Header=BB32_2 Depth=1
	s_or_b64 exec, exec, s[12:13]
	s_add_i32 s14, s14, -1
	s_cmp_eq_u32 s14, 0
	; wave barrier
	s_cbranch_scc1 .LBB32_26
.LBB32_2:                               ; =>This Inner Loop Header: Depth=1
	s_waitcnt vmcnt(0)
	ds_write_b8 v1, v2
	; wave barrier
	s_and_saveexec_b64 s[12:13], vcc
	s_cbranch_execz .LBB32_4
; %bb.3:                                ;   in Loop: Header=BB32_2 Depth=1
	ds_read_u8 v2, v1
	ds_read_u8 v3, v1 offset:32
	s_waitcnt lgkmcnt(0)
	v_add_u16_e32 v2, v3, v2
.LBB32_4:                               ;   in Loop: Header=BB32_2 Depth=1
	s_or_b64 exec, exec, s[12:13]
	; wave barrier
	s_and_saveexec_b64 s[12:13], vcc
; %bb.5:                                ;   in Loop: Header=BB32_2 Depth=1
	ds_write_b8 v1, v2
; %bb.6:                                ;   in Loop: Header=BB32_2 Depth=1
	s_or_b64 exec, exec, s[12:13]
	; wave barrier
	s_and_saveexec_b64 s[12:13], s[0:1]
	s_cbranch_execz .LBB32_8
; %bb.7:                                ;   in Loop: Header=BB32_2 Depth=1
	ds_read_u8 v2, v1
	ds_read_u8 v3, v1 offset:16
	s_waitcnt lgkmcnt(0)
	v_add_u16_e32 v2, v3, v2
.LBB32_8:                               ;   in Loop: Header=BB32_2 Depth=1
	s_or_b64 exec, exec, s[12:13]
	; wave barrier
	s_and_saveexec_b64 s[12:13], s[0:1]
; %bb.9:                                ;   in Loop: Header=BB32_2 Depth=1
	ds_write_b8 v1, v2
; %bb.10:                               ;   in Loop: Header=BB32_2 Depth=1
	s_or_b64 exec, exec, s[12:13]
	; wave barrier
	s_and_saveexec_b64 s[12:13], s[2:3]
	s_cbranch_execz .LBB32_12
; %bb.11:                               ;   in Loop: Header=BB32_2 Depth=1
	ds_read_u8 v2, v1
	ds_read_u8 v3, v1 offset:8
	s_waitcnt lgkmcnt(0)
	v_add_u16_e32 v2, v3, v2
.LBB32_12:                              ;   in Loop: Header=BB32_2 Depth=1
	s_or_b64 exec, exec, s[12:13]
	; wave barrier
	s_and_saveexec_b64 s[12:13], s[2:3]
; %bb.13:                               ;   in Loop: Header=BB32_2 Depth=1
	ds_write_b8 v1, v2
; %bb.14:                               ;   in Loop: Header=BB32_2 Depth=1
	s_or_b64 exec, exec, s[12:13]
	; wave barrier
	s_and_saveexec_b64 s[12:13], s[4:5]
	s_cbranch_execz .LBB32_16
; %bb.15:                               ;   in Loop: Header=BB32_2 Depth=1
	ds_read_u8 v2, v1
	ds_read_u8 v3, v1 offset:4
	s_waitcnt lgkmcnt(0)
	v_add_u16_e32 v2, v3, v2
.LBB32_16:                              ;   in Loop: Header=BB32_2 Depth=1
	s_or_b64 exec, exec, s[12:13]
	; wave barrier
	s_and_saveexec_b64 s[12:13], s[4:5]
; %bb.17:                               ;   in Loop: Header=BB32_2 Depth=1
	;; [unrolled: 16-line block ×3, first 2 shown]
	ds_write_b8 v1, v2
; %bb.22:                               ;   in Loop: Header=BB32_2 Depth=1
	s_or_b64 exec, exec, s[12:13]
	; wave barrier
	s_and_saveexec_b64 s[12:13], s[8:9]
	s_cbranch_execz .LBB32_24
; %bb.23:                               ;   in Loop: Header=BB32_2 Depth=1
	ds_read_u8 v2, v1
	ds_read_u8 v3, v1 offset:1
	s_waitcnt lgkmcnt(0)
	v_add_u16_e32 v2, v3, v2
.LBB32_24:                              ;   in Loop: Header=BB32_2 Depth=1
	s_or_b64 exec, exec, s[12:13]
	; wave barrier
	s_and_saveexec_b64 s[12:13], s[8:9]
	s_cbranch_execz .LBB32_1
; %bb.25:                               ;   in Loop: Header=BB32_2 Depth=1
	ds_write_b8 v1, v2
	s_branch .LBB32_1
.LBB32_26:
	v_mov_b32_e32 v1, s11
	v_add_co_u32_e32 v0, vcc, s10, v0
	v_addc_co_u32_e32 v1, vcc, 0, v1, vcc
	global_store_byte v[0:1], v2, off
	s_endpgm
	.section	.rodata,"a",@progbits
	.p2align	6, 0x0
	.amdhsa_kernel _Z18warp_reduce_kernelIhLj37ELj100EENSt9enable_ifIXsr15benchmark_utilsE35device_test_enabled_for_warp_size_vIXT0_EEEvE4typeEPKT_PS3_
		.amdhsa_group_segment_fixed_size 37
		.amdhsa_private_segment_fixed_size 0
		.amdhsa_kernarg_size 272
		.amdhsa_user_sgpr_count 6
		.amdhsa_user_sgpr_private_segment_buffer 1
		.amdhsa_user_sgpr_dispatch_ptr 0
		.amdhsa_user_sgpr_queue_ptr 0
		.amdhsa_user_sgpr_kernarg_segment_ptr 1
		.amdhsa_user_sgpr_dispatch_id 0
		.amdhsa_user_sgpr_flat_scratch_init 0
		.amdhsa_user_sgpr_private_segment_size 0
		.amdhsa_uses_dynamic_stack 0
		.amdhsa_system_sgpr_private_segment_wavefront_offset 0
		.amdhsa_system_sgpr_workgroup_id_x 1
		.amdhsa_system_sgpr_workgroup_id_y 0
		.amdhsa_system_sgpr_workgroup_id_z 0
		.amdhsa_system_sgpr_workgroup_info 0
		.amdhsa_system_vgpr_workitem_id 0
		.amdhsa_next_free_vgpr 4
		.amdhsa_next_free_sgpr 15
		.amdhsa_reserve_vcc 1
		.amdhsa_reserve_flat_scratch 0
		.amdhsa_float_round_mode_32 0
		.amdhsa_float_round_mode_16_64 0
		.amdhsa_float_denorm_mode_32 3
		.amdhsa_float_denorm_mode_16_64 3
		.amdhsa_dx10_clamp 1
		.amdhsa_ieee_mode 1
		.amdhsa_fp16_overflow 0
		.amdhsa_exception_fp_ieee_invalid_op 0
		.amdhsa_exception_fp_denorm_src 0
		.amdhsa_exception_fp_ieee_div_zero 0
		.amdhsa_exception_fp_ieee_overflow 0
		.amdhsa_exception_fp_ieee_underflow 0
		.amdhsa_exception_fp_ieee_inexact 0
		.amdhsa_exception_int_div_zero 0
	.end_amdhsa_kernel
	.section	.text._Z18warp_reduce_kernelIhLj37ELj100EENSt9enable_ifIXsr15benchmark_utilsE35device_test_enabled_for_warp_size_vIXT0_EEEvE4typeEPKT_PS3_,"axG",@progbits,_Z18warp_reduce_kernelIhLj37ELj100EENSt9enable_ifIXsr15benchmark_utilsE35device_test_enabled_for_warp_size_vIXT0_EEEvE4typeEPKT_PS3_,comdat
.Lfunc_end32:
	.size	_Z18warp_reduce_kernelIhLj37ELj100EENSt9enable_ifIXsr15benchmark_utilsE35device_test_enabled_for_warp_size_vIXT0_EEEvE4typeEPKT_PS3_, .Lfunc_end32-_Z18warp_reduce_kernelIhLj37ELj100EENSt9enable_ifIXsr15benchmark_utilsE35device_test_enabled_for_warp_size_vIXT0_EEEvE4typeEPKT_PS3_
                                        ; -- End function
	.set _Z18warp_reduce_kernelIhLj37ELj100EENSt9enable_ifIXsr15benchmark_utilsE35device_test_enabled_for_warp_size_vIXT0_EEEvE4typeEPKT_PS3_.num_vgpr, 4
	.set _Z18warp_reduce_kernelIhLj37ELj100EENSt9enable_ifIXsr15benchmark_utilsE35device_test_enabled_for_warp_size_vIXT0_EEEvE4typeEPKT_PS3_.num_agpr, 0
	.set _Z18warp_reduce_kernelIhLj37ELj100EENSt9enable_ifIXsr15benchmark_utilsE35device_test_enabled_for_warp_size_vIXT0_EEEvE4typeEPKT_PS3_.numbered_sgpr, 15
	.set _Z18warp_reduce_kernelIhLj37ELj100EENSt9enable_ifIXsr15benchmark_utilsE35device_test_enabled_for_warp_size_vIXT0_EEEvE4typeEPKT_PS3_.num_named_barrier, 0
	.set _Z18warp_reduce_kernelIhLj37ELj100EENSt9enable_ifIXsr15benchmark_utilsE35device_test_enabled_for_warp_size_vIXT0_EEEvE4typeEPKT_PS3_.private_seg_size, 0
	.set _Z18warp_reduce_kernelIhLj37ELj100EENSt9enable_ifIXsr15benchmark_utilsE35device_test_enabled_for_warp_size_vIXT0_EEEvE4typeEPKT_PS3_.uses_vcc, 1
	.set _Z18warp_reduce_kernelIhLj37ELj100EENSt9enable_ifIXsr15benchmark_utilsE35device_test_enabled_for_warp_size_vIXT0_EEEvE4typeEPKT_PS3_.uses_flat_scratch, 0
	.set _Z18warp_reduce_kernelIhLj37ELj100EENSt9enable_ifIXsr15benchmark_utilsE35device_test_enabled_for_warp_size_vIXT0_EEEvE4typeEPKT_PS3_.has_dyn_sized_stack, 0
	.set _Z18warp_reduce_kernelIhLj37ELj100EENSt9enable_ifIXsr15benchmark_utilsE35device_test_enabled_for_warp_size_vIXT0_EEEvE4typeEPKT_PS3_.has_recursion, 0
	.set _Z18warp_reduce_kernelIhLj37ELj100EENSt9enable_ifIXsr15benchmark_utilsE35device_test_enabled_for_warp_size_vIXT0_EEEvE4typeEPKT_PS3_.has_indirect_call, 0
	.section	.AMDGPU.csdata,"",@progbits
; Kernel info:
; codeLenInByte = 504
; TotalNumSgprs: 19
; NumVgprs: 4
; ScratchSize: 0
; MemoryBound: 0
; FloatMode: 240
; IeeeMode: 1
; LDSByteSize: 37 bytes/workgroup (compile time only)
; SGPRBlocks: 2
; VGPRBlocks: 0
; NumSGPRsForWavesPerEU: 19
; NumVGPRsForWavesPerEU: 4
; Occupancy: 10
; WaveLimiterHint : 0
; COMPUTE_PGM_RSRC2:SCRATCH_EN: 0
; COMPUTE_PGM_RSRC2:USER_SGPR: 6
; COMPUTE_PGM_RSRC2:TRAP_HANDLER: 0
; COMPUTE_PGM_RSRC2:TGID_X_EN: 1
; COMPUTE_PGM_RSRC2:TGID_Y_EN: 0
; COMPUTE_PGM_RSRC2:TGID_Z_EN: 0
; COMPUTE_PGM_RSRC2:TIDIG_COMP_CNT: 0
	.section	.text._Z18warp_reduce_kernelIhLj61ELj100EENSt9enable_ifIXsr15benchmark_utilsE35device_test_enabled_for_warp_size_vIXT0_EEEvE4typeEPKT_PS3_,"axG",@progbits,_Z18warp_reduce_kernelIhLj61ELj100EENSt9enable_ifIXsr15benchmark_utilsE35device_test_enabled_for_warp_size_vIXT0_EEEvE4typeEPKT_PS3_,comdat
	.protected	_Z18warp_reduce_kernelIhLj61ELj100EENSt9enable_ifIXsr15benchmark_utilsE35device_test_enabled_for_warp_size_vIXT0_EEEvE4typeEPKT_PS3_ ; -- Begin function _Z18warp_reduce_kernelIhLj61ELj100EENSt9enable_ifIXsr15benchmark_utilsE35device_test_enabled_for_warp_size_vIXT0_EEEvE4typeEPKT_PS3_
	.globl	_Z18warp_reduce_kernelIhLj61ELj100EENSt9enable_ifIXsr15benchmark_utilsE35device_test_enabled_for_warp_size_vIXT0_EEEvE4typeEPKT_PS3_
	.p2align	8
	.type	_Z18warp_reduce_kernelIhLj61ELj100EENSt9enable_ifIXsr15benchmark_utilsE35device_test_enabled_for_warp_size_vIXT0_EEEvE4typeEPKT_PS3_,@function
_Z18warp_reduce_kernelIhLj61ELj100EENSt9enable_ifIXsr15benchmark_utilsE35device_test_enabled_for_warp_size_vIXT0_EEEvE4typeEPKT_PS3_: ; @_Z18warp_reduce_kernelIhLj61ELj100EENSt9enable_ifIXsr15benchmark_utilsE35device_test_enabled_for_warp_size_vIXT0_EEEvE4typeEPKT_PS3_
; %bb.0:
	s_load_dword s0, s[4:5], 0x1c
	s_load_dwordx4 s[8:11], s[4:5], 0x0
	v_mbcnt_lo_u32_b32 v1, -1, 0
	v_mbcnt_hi_u32_b32 v1, -1, v1
	s_movk_i32 s14, 0x64
	s_waitcnt lgkmcnt(0)
	s_and_b32 s0, s0, 0xffff
	s_mul_i32 s6, s6, s0
	v_add_u32_e32 v0, s6, v0
	global_load_ubyte v2, v0, s[8:9]
	s_mov_b32 s0, 0x4325c54
	v_mul_hi_u32 v3, v1, s0
	v_mul_u32_u24_e32 v3, 61, v3
	v_sub_u32_e32 v1, v1, v3
	v_cmp_gt_u32_e32 vcc, 29, v1
	v_cmp_gt_u32_e64 s[0:1], 16, v1
	v_cmp_gt_u32_e64 s[2:3], 8, v1
	v_cmp_gt_u32_e64 s[4:5], 4, v1
	v_cmp_gt_u32_e64 s[6:7], 2, v1
	v_cmp_eq_u32_e64 s[8:9], 0, v1
	s_branch .LBB33_2
.LBB33_1:                               ;   in Loop: Header=BB33_2 Depth=1
	s_or_b64 exec, exec, s[12:13]
	s_add_i32 s14, s14, -1
	s_cmp_eq_u32 s14, 0
	; wave barrier
	s_cbranch_scc1 .LBB33_26
.LBB33_2:                               ; =>This Inner Loop Header: Depth=1
	s_waitcnt vmcnt(0)
	ds_write_b8 v1, v2
	; wave barrier
	s_and_saveexec_b64 s[12:13], vcc
	s_cbranch_execz .LBB33_4
; %bb.3:                                ;   in Loop: Header=BB33_2 Depth=1
	ds_read_u8 v2, v1
	ds_read_u8 v3, v1 offset:32
	s_waitcnt lgkmcnt(0)
	v_add_u16_e32 v2, v3, v2
.LBB33_4:                               ;   in Loop: Header=BB33_2 Depth=1
	s_or_b64 exec, exec, s[12:13]
	; wave barrier
	s_and_saveexec_b64 s[12:13], vcc
; %bb.5:                                ;   in Loop: Header=BB33_2 Depth=1
	ds_write_b8 v1, v2
; %bb.6:                                ;   in Loop: Header=BB33_2 Depth=1
	s_or_b64 exec, exec, s[12:13]
	; wave barrier
	s_and_saveexec_b64 s[12:13], s[0:1]
	s_cbranch_execz .LBB33_8
; %bb.7:                                ;   in Loop: Header=BB33_2 Depth=1
	ds_read_u8 v2, v1
	ds_read_u8 v3, v1 offset:16
	s_waitcnt lgkmcnt(0)
	v_add_u16_e32 v2, v3, v2
.LBB33_8:                               ;   in Loop: Header=BB33_2 Depth=1
	s_or_b64 exec, exec, s[12:13]
	; wave barrier
	s_and_saveexec_b64 s[12:13], s[0:1]
; %bb.9:                                ;   in Loop: Header=BB33_2 Depth=1
	ds_write_b8 v1, v2
; %bb.10:                               ;   in Loop: Header=BB33_2 Depth=1
	s_or_b64 exec, exec, s[12:13]
	; wave barrier
	s_and_saveexec_b64 s[12:13], s[2:3]
	s_cbranch_execz .LBB33_12
; %bb.11:                               ;   in Loop: Header=BB33_2 Depth=1
	ds_read_u8 v2, v1
	ds_read_u8 v3, v1 offset:8
	s_waitcnt lgkmcnt(0)
	v_add_u16_e32 v2, v3, v2
.LBB33_12:                              ;   in Loop: Header=BB33_2 Depth=1
	s_or_b64 exec, exec, s[12:13]
	; wave barrier
	s_and_saveexec_b64 s[12:13], s[2:3]
; %bb.13:                               ;   in Loop: Header=BB33_2 Depth=1
	ds_write_b8 v1, v2
; %bb.14:                               ;   in Loop: Header=BB33_2 Depth=1
	s_or_b64 exec, exec, s[12:13]
	; wave barrier
	s_and_saveexec_b64 s[12:13], s[4:5]
	s_cbranch_execz .LBB33_16
; %bb.15:                               ;   in Loop: Header=BB33_2 Depth=1
	ds_read_u8 v2, v1
	ds_read_u8 v3, v1 offset:4
	s_waitcnt lgkmcnt(0)
	v_add_u16_e32 v2, v3, v2
.LBB33_16:                              ;   in Loop: Header=BB33_2 Depth=1
	s_or_b64 exec, exec, s[12:13]
	; wave barrier
	s_and_saveexec_b64 s[12:13], s[4:5]
; %bb.17:                               ;   in Loop: Header=BB33_2 Depth=1
	;; [unrolled: 16-line block ×3, first 2 shown]
	ds_write_b8 v1, v2
; %bb.22:                               ;   in Loop: Header=BB33_2 Depth=1
	s_or_b64 exec, exec, s[12:13]
	; wave barrier
	s_and_saveexec_b64 s[12:13], s[8:9]
	s_cbranch_execz .LBB33_24
; %bb.23:                               ;   in Loop: Header=BB33_2 Depth=1
	ds_read_u8 v2, v1
	ds_read_u8 v3, v1 offset:1
	s_waitcnt lgkmcnt(0)
	v_add_u16_e32 v2, v3, v2
.LBB33_24:                              ;   in Loop: Header=BB33_2 Depth=1
	s_or_b64 exec, exec, s[12:13]
	; wave barrier
	s_and_saveexec_b64 s[12:13], s[8:9]
	s_cbranch_execz .LBB33_1
; %bb.25:                               ;   in Loop: Header=BB33_2 Depth=1
	ds_write_b8 v1, v2
	s_branch .LBB33_1
.LBB33_26:
	v_mov_b32_e32 v1, s11
	v_add_co_u32_e32 v0, vcc, s10, v0
	v_addc_co_u32_e32 v1, vcc, 0, v1, vcc
	global_store_byte v[0:1], v2, off
	s_endpgm
	.section	.rodata,"a",@progbits
	.p2align	6, 0x0
	.amdhsa_kernel _Z18warp_reduce_kernelIhLj61ELj100EENSt9enable_ifIXsr15benchmark_utilsE35device_test_enabled_for_warp_size_vIXT0_EEEvE4typeEPKT_PS3_
		.amdhsa_group_segment_fixed_size 61
		.amdhsa_private_segment_fixed_size 0
		.amdhsa_kernarg_size 272
		.amdhsa_user_sgpr_count 6
		.amdhsa_user_sgpr_private_segment_buffer 1
		.amdhsa_user_sgpr_dispatch_ptr 0
		.amdhsa_user_sgpr_queue_ptr 0
		.amdhsa_user_sgpr_kernarg_segment_ptr 1
		.amdhsa_user_sgpr_dispatch_id 0
		.amdhsa_user_sgpr_flat_scratch_init 0
		.amdhsa_user_sgpr_private_segment_size 0
		.amdhsa_uses_dynamic_stack 0
		.amdhsa_system_sgpr_private_segment_wavefront_offset 0
		.amdhsa_system_sgpr_workgroup_id_x 1
		.amdhsa_system_sgpr_workgroup_id_y 0
		.amdhsa_system_sgpr_workgroup_id_z 0
		.amdhsa_system_sgpr_workgroup_info 0
		.amdhsa_system_vgpr_workitem_id 0
		.amdhsa_next_free_vgpr 4
		.amdhsa_next_free_sgpr 15
		.amdhsa_reserve_vcc 1
		.amdhsa_reserve_flat_scratch 0
		.amdhsa_float_round_mode_32 0
		.amdhsa_float_round_mode_16_64 0
		.amdhsa_float_denorm_mode_32 3
		.amdhsa_float_denorm_mode_16_64 3
		.amdhsa_dx10_clamp 1
		.amdhsa_ieee_mode 1
		.amdhsa_fp16_overflow 0
		.amdhsa_exception_fp_ieee_invalid_op 0
		.amdhsa_exception_fp_denorm_src 0
		.amdhsa_exception_fp_ieee_div_zero 0
		.amdhsa_exception_fp_ieee_overflow 0
		.amdhsa_exception_fp_ieee_underflow 0
		.amdhsa_exception_fp_ieee_inexact 0
		.amdhsa_exception_int_div_zero 0
	.end_amdhsa_kernel
	.section	.text._Z18warp_reduce_kernelIhLj61ELj100EENSt9enable_ifIXsr15benchmark_utilsE35device_test_enabled_for_warp_size_vIXT0_EEEvE4typeEPKT_PS3_,"axG",@progbits,_Z18warp_reduce_kernelIhLj61ELj100EENSt9enable_ifIXsr15benchmark_utilsE35device_test_enabled_for_warp_size_vIXT0_EEEvE4typeEPKT_PS3_,comdat
.Lfunc_end33:
	.size	_Z18warp_reduce_kernelIhLj61ELj100EENSt9enable_ifIXsr15benchmark_utilsE35device_test_enabled_for_warp_size_vIXT0_EEEvE4typeEPKT_PS3_, .Lfunc_end33-_Z18warp_reduce_kernelIhLj61ELj100EENSt9enable_ifIXsr15benchmark_utilsE35device_test_enabled_for_warp_size_vIXT0_EEEvE4typeEPKT_PS3_
                                        ; -- End function
	.set _Z18warp_reduce_kernelIhLj61ELj100EENSt9enable_ifIXsr15benchmark_utilsE35device_test_enabled_for_warp_size_vIXT0_EEEvE4typeEPKT_PS3_.num_vgpr, 4
	.set _Z18warp_reduce_kernelIhLj61ELj100EENSt9enable_ifIXsr15benchmark_utilsE35device_test_enabled_for_warp_size_vIXT0_EEEvE4typeEPKT_PS3_.num_agpr, 0
	.set _Z18warp_reduce_kernelIhLj61ELj100EENSt9enable_ifIXsr15benchmark_utilsE35device_test_enabled_for_warp_size_vIXT0_EEEvE4typeEPKT_PS3_.numbered_sgpr, 15
	.set _Z18warp_reduce_kernelIhLj61ELj100EENSt9enable_ifIXsr15benchmark_utilsE35device_test_enabled_for_warp_size_vIXT0_EEEvE4typeEPKT_PS3_.num_named_barrier, 0
	.set _Z18warp_reduce_kernelIhLj61ELj100EENSt9enable_ifIXsr15benchmark_utilsE35device_test_enabled_for_warp_size_vIXT0_EEEvE4typeEPKT_PS3_.private_seg_size, 0
	.set _Z18warp_reduce_kernelIhLj61ELj100EENSt9enable_ifIXsr15benchmark_utilsE35device_test_enabled_for_warp_size_vIXT0_EEEvE4typeEPKT_PS3_.uses_vcc, 1
	.set _Z18warp_reduce_kernelIhLj61ELj100EENSt9enable_ifIXsr15benchmark_utilsE35device_test_enabled_for_warp_size_vIXT0_EEEvE4typeEPKT_PS3_.uses_flat_scratch, 0
	.set _Z18warp_reduce_kernelIhLj61ELj100EENSt9enable_ifIXsr15benchmark_utilsE35device_test_enabled_for_warp_size_vIXT0_EEEvE4typeEPKT_PS3_.has_dyn_sized_stack, 0
	.set _Z18warp_reduce_kernelIhLj61ELj100EENSt9enable_ifIXsr15benchmark_utilsE35device_test_enabled_for_warp_size_vIXT0_EEEvE4typeEPKT_PS3_.has_recursion, 0
	.set _Z18warp_reduce_kernelIhLj61ELj100EENSt9enable_ifIXsr15benchmark_utilsE35device_test_enabled_for_warp_size_vIXT0_EEEvE4typeEPKT_PS3_.has_indirect_call, 0
	.section	.AMDGPU.csdata,"",@progbits
; Kernel info:
; codeLenInByte = 504
; TotalNumSgprs: 19
; NumVgprs: 4
; ScratchSize: 0
; MemoryBound: 0
; FloatMode: 240
; IeeeMode: 1
; LDSByteSize: 61 bytes/workgroup (compile time only)
; SGPRBlocks: 2
; VGPRBlocks: 0
; NumSGPRsForWavesPerEU: 19
; NumVGPRsForWavesPerEU: 4
; Occupancy: 10
; WaveLimiterHint : 0
; COMPUTE_PGM_RSRC2:SCRATCH_EN: 0
; COMPUTE_PGM_RSRC2:USER_SGPR: 6
; COMPUTE_PGM_RSRC2:TRAP_HANDLER: 0
; COMPUTE_PGM_RSRC2:TGID_X_EN: 1
; COMPUTE_PGM_RSRC2:TGID_Y_EN: 0
; COMPUTE_PGM_RSRC2:TGID_Z_EN: 0
; COMPUTE_PGM_RSRC2:TIDIG_COMP_CNT: 0
	.section	.text._Z18warp_reduce_kernelIhLj64ELj100EENSt9enable_ifIXsr15benchmark_utilsE35device_test_enabled_for_warp_size_vIXT0_EEEvE4typeEPKT_PS3_,"axG",@progbits,_Z18warp_reduce_kernelIhLj64ELj100EENSt9enable_ifIXsr15benchmark_utilsE35device_test_enabled_for_warp_size_vIXT0_EEEvE4typeEPKT_PS3_,comdat
	.protected	_Z18warp_reduce_kernelIhLj64ELj100EENSt9enable_ifIXsr15benchmark_utilsE35device_test_enabled_for_warp_size_vIXT0_EEEvE4typeEPKT_PS3_ ; -- Begin function _Z18warp_reduce_kernelIhLj64ELj100EENSt9enable_ifIXsr15benchmark_utilsE35device_test_enabled_for_warp_size_vIXT0_EEEvE4typeEPKT_PS3_
	.globl	_Z18warp_reduce_kernelIhLj64ELj100EENSt9enable_ifIXsr15benchmark_utilsE35device_test_enabled_for_warp_size_vIXT0_EEEvE4typeEPKT_PS3_
	.p2align	8
	.type	_Z18warp_reduce_kernelIhLj64ELj100EENSt9enable_ifIXsr15benchmark_utilsE35device_test_enabled_for_warp_size_vIXT0_EEEvE4typeEPKT_PS3_,@function
_Z18warp_reduce_kernelIhLj64ELj100EENSt9enable_ifIXsr15benchmark_utilsE35device_test_enabled_for_warp_size_vIXT0_EEEvE4typeEPKT_PS3_: ; @_Z18warp_reduce_kernelIhLj64ELj100EENSt9enable_ifIXsr15benchmark_utilsE35device_test_enabled_for_warp_size_vIXT0_EEEvE4typeEPKT_PS3_
; %bb.0:
	s_load_dword s7, s[4:5], 0x1c
	s_load_dwordx4 s[0:3], s[4:5], 0x0
	v_mbcnt_lo_u32_b32 v1, -1, 0
	v_mbcnt_hi_u32_b32 v1, -1, v1
	v_bfrev_b32_e32 v3, 0.5
	s_waitcnt lgkmcnt(0)
	s_and_b32 s4, s7, 0xffff
	s_mul_i32 s6, s6, s4
	v_add_u32_e32 v0, s6, v0
	global_load_ubyte v2, v0, s[0:1]
	v_lshl_or_b32 v1, v1, 2, v3
	s_movk_i32 s0, 0x64
.LBB34_1:                               ; =>This Inner Loop Header: Depth=1
	s_waitcnt vmcnt(0) lgkmcnt(0)
	v_and_b32_e32 v3, 0xff, v2
	s_add_i32 s0, s0, -1
	s_cmp_eq_u32 s0, 0
	v_mov_b32_dpp v3, v3 quad_perm:[1,0,3,2] row_mask:0xf bank_mask:0xf
	v_add_u16_e32 v2, v2, v3
	v_and_b32_e32 v3, 0xff, v2
	s_nop 1
	v_mov_b32_dpp v3, v3 quad_perm:[2,3,0,1] row_mask:0xf bank_mask:0xf
	v_add_u16_e32 v2, v2, v3
	v_and_b32_e32 v3, 0xff, v2
	s_nop 1
	v_mov_b32_dpp v3, v3 row_ror:4 row_mask:0xf bank_mask:0xf
	v_add_u16_e32 v2, v2, v3
	v_and_b32_e32 v3, 0xff, v2
	s_nop 1
	v_mov_b32_dpp v3, v3 row_ror:8 row_mask:0xf bank_mask:0xf
	v_add_u16_e32 v2, v2, v3
	v_and_b32_e32 v3, 0xff, v2
	s_nop 1
	v_mov_b32_dpp v3, v3 row_bcast:15 row_mask:0xf bank_mask:0xf
	v_add_u16_e32 v2, v2, v3
	v_and_b32_e32 v3, 0xff, v2
	s_nop 1
	v_mov_b32_dpp v3, v3 row_bcast:31 row_mask:0xf bank_mask:0xf
	v_add_u16_e32 v2, v2, v3
	v_and_b32_e32 v2, 0xff, v2
	ds_bpermute_b32 v2, v1, v2
	s_cbranch_scc0 .LBB34_1
; %bb.2:
	v_mov_b32_e32 v1, s3
	v_add_co_u32_e32 v0, vcc, s2, v0
	v_addc_co_u32_e32 v1, vcc, 0, v1, vcc
	s_waitcnt lgkmcnt(0)
	global_store_byte v[0:1], v2, off
	s_endpgm
	.section	.rodata,"a",@progbits
	.p2align	6, 0x0
	.amdhsa_kernel _Z18warp_reduce_kernelIhLj64ELj100EENSt9enable_ifIXsr15benchmark_utilsE35device_test_enabled_for_warp_size_vIXT0_EEEvE4typeEPKT_PS3_
		.amdhsa_group_segment_fixed_size 0
		.amdhsa_private_segment_fixed_size 0
		.amdhsa_kernarg_size 272
		.amdhsa_user_sgpr_count 6
		.amdhsa_user_sgpr_private_segment_buffer 1
		.amdhsa_user_sgpr_dispatch_ptr 0
		.amdhsa_user_sgpr_queue_ptr 0
		.amdhsa_user_sgpr_kernarg_segment_ptr 1
		.amdhsa_user_sgpr_dispatch_id 0
		.amdhsa_user_sgpr_flat_scratch_init 0
		.amdhsa_user_sgpr_private_segment_size 0
		.amdhsa_uses_dynamic_stack 0
		.amdhsa_system_sgpr_private_segment_wavefront_offset 0
		.amdhsa_system_sgpr_workgroup_id_x 1
		.amdhsa_system_sgpr_workgroup_id_y 0
		.amdhsa_system_sgpr_workgroup_id_z 0
		.amdhsa_system_sgpr_workgroup_info 0
		.amdhsa_system_vgpr_workitem_id 0
		.amdhsa_next_free_vgpr 4
		.amdhsa_next_free_sgpr 8
		.amdhsa_reserve_vcc 1
		.amdhsa_reserve_flat_scratch 0
		.amdhsa_float_round_mode_32 0
		.amdhsa_float_round_mode_16_64 0
		.amdhsa_float_denorm_mode_32 3
		.amdhsa_float_denorm_mode_16_64 3
		.amdhsa_dx10_clamp 1
		.amdhsa_ieee_mode 1
		.amdhsa_fp16_overflow 0
		.amdhsa_exception_fp_ieee_invalid_op 0
		.amdhsa_exception_fp_denorm_src 0
		.amdhsa_exception_fp_ieee_div_zero 0
		.amdhsa_exception_fp_ieee_overflow 0
		.amdhsa_exception_fp_ieee_underflow 0
		.amdhsa_exception_fp_ieee_inexact 0
		.amdhsa_exception_int_div_zero 0
	.end_amdhsa_kernel
	.section	.text._Z18warp_reduce_kernelIhLj64ELj100EENSt9enable_ifIXsr15benchmark_utilsE35device_test_enabled_for_warp_size_vIXT0_EEEvE4typeEPKT_PS3_,"axG",@progbits,_Z18warp_reduce_kernelIhLj64ELj100EENSt9enable_ifIXsr15benchmark_utilsE35device_test_enabled_for_warp_size_vIXT0_EEEvE4typeEPKT_PS3_,comdat
.Lfunc_end34:
	.size	_Z18warp_reduce_kernelIhLj64ELj100EENSt9enable_ifIXsr15benchmark_utilsE35device_test_enabled_for_warp_size_vIXT0_EEEvE4typeEPKT_PS3_, .Lfunc_end34-_Z18warp_reduce_kernelIhLj64ELj100EENSt9enable_ifIXsr15benchmark_utilsE35device_test_enabled_for_warp_size_vIXT0_EEEvE4typeEPKT_PS3_
                                        ; -- End function
	.set _Z18warp_reduce_kernelIhLj64ELj100EENSt9enable_ifIXsr15benchmark_utilsE35device_test_enabled_for_warp_size_vIXT0_EEEvE4typeEPKT_PS3_.num_vgpr, 4
	.set _Z18warp_reduce_kernelIhLj64ELj100EENSt9enable_ifIXsr15benchmark_utilsE35device_test_enabled_for_warp_size_vIXT0_EEEvE4typeEPKT_PS3_.num_agpr, 0
	.set _Z18warp_reduce_kernelIhLj64ELj100EENSt9enable_ifIXsr15benchmark_utilsE35device_test_enabled_for_warp_size_vIXT0_EEEvE4typeEPKT_PS3_.numbered_sgpr, 8
	.set _Z18warp_reduce_kernelIhLj64ELj100EENSt9enable_ifIXsr15benchmark_utilsE35device_test_enabled_for_warp_size_vIXT0_EEEvE4typeEPKT_PS3_.num_named_barrier, 0
	.set _Z18warp_reduce_kernelIhLj64ELj100EENSt9enable_ifIXsr15benchmark_utilsE35device_test_enabled_for_warp_size_vIXT0_EEEvE4typeEPKT_PS3_.private_seg_size, 0
	.set _Z18warp_reduce_kernelIhLj64ELj100EENSt9enable_ifIXsr15benchmark_utilsE35device_test_enabled_for_warp_size_vIXT0_EEEvE4typeEPKT_PS3_.uses_vcc, 1
	.set _Z18warp_reduce_kernelIhLj64ELj100EENSt9enable_ifIXsr15benchmark_utilsE35device_test_enabled_for_warp_size_vIXT0_EEEvE4typeEPKT_PS3_.uses_flat_scratch, 0
	.set _Z18warp_reduce_kernelIhLj64ELj100EENSt9enable_ifIXsr15benchmark_utilsE35device_test_enabled_for_warp_size_vIXT0_EEEvE4typeEPKT_PS3_.has_dyn_sized_stack, 0
	.set _Z18warp_reduce_kernelIhLj64ELj100EENSt9enable_ifIXsr15benchmark_utilsE35device_test_enabled_for_warp_size_vIXT0_EEEvE4typeEPKT_PS3_.has_recursion, 0
	.set _Z18warp_reduce_kernelIhLj64ELj100EENSt9enable_ifIXsr15benchmark_utilsE35device_test_enabled_for_warp_size_vIXT0_EEEvE4typeEPKT_PS3_.has_indirect_call, 0
	.section	.AMDGPU.csdata,"",@progbits
; Kernel info:
; codeLenInByte = 276
; TotalNumSgprs: 12
; NumVgprs: 4
; ScratchSize: 0
; MemoryBound: 0
; FloatMode: 240
; IeeeMode: 1
; LDSByteSize: 0 bytes/workgroup (compile time only)
; SGPRBlocks: 1
; VGPRBlocks: 0
; NumSGPRsForWavesPerEU: 12
; NumVGPRsForWavesPerEU: 4
; Occupancy: 10
; WaveLimiterHint : 0
; COMPUTE_PGM_RSRC2:SCRATCH_EN: 0
; COMPUTE_PGM_RSRC2:USER_SGPR: 6
; COMPUTE_PGM_RSRC2:TRAP_HANDLER: 0
; COMPUTE_PGM_RSRC2:TGID_X_EN: 1
; COMPUTE_PGM_RSRC2:TGID_Y_EN: 0
; COMPUTE_PGM_RSRC2:TGID_Z_EN: 0
; COMPUTE_PGM_RSRC2:TIDIG_COMP_CNT: 0
	.section	.text._Z28segmented_warp_reduce_kernelIihLj15ELj100EENSt9enable_ifIXsr15benchmark_utilsE35device_test_enabled_for_warp_size_vIXT1_EEEvE4typeEPKT_PT0_PS3_,"axG",@progbits,_Z28segmented_warp_reduce_kernelIihLj15ELj100EENSt9enable_ifIXsr15benchmark_utilsE35device_test_enabled_for_warp_size_vIXT1_EEEvE4typeEPKT_PT0_PS3_,comdat
	.protected	_Z28segmented_warp_reduce_kernelIihLj15ELj100EENSt9enable_ifIXsr15benchmark_utilsE35device_test_enabled_for_warp_size_vIXT1_EEEvE4typeEPKT_PT0_PS3_ ; -- Begin function _Z28segmented_warp_reduce_kernelIihLj15ELj100EENSt9enable_ifIXsr15benchmark_utilsE35device_test_enabled_for_warp_size_vIXT1_EEEvE4typeEPKT_PT0_PS3_
	.globl	_Z28segmented_warp_reduce_kernelIihLj15ELj100EENSt9enable_ifIXsr15benchmark_utilsE35device_test_enabled_for_warp_size_vIXT1_EEEvE4typeEPKT_PT0_PS3_
	.p2align	8
	.type	_Z28segmented_warp_reduce_kernelIihLj15ELj100EENSt9enable_ifIXsr15benchmark_utilsE35device_test_enabled_for_warp_size_vIXT1_EEEvE4typeEPKT_PT0_PS3_,@function
_Z28segmented_warp_reduce_kernelIihLj15ELj100EENSt9enable_ifIXsr15benchmark_utilsE35device_test_enabled_for_warp_size_vIXT1_EEEvE4typeEPKT_PT0_PS3_: ; @_Z28segmented_warp_reduce_kernelIihLj15ELj100EENSt9enable_ifIXsr15benchmark_utilsE35device_test_enabled_for_warp_size_vIXT1_EEEvE4typeEPKT_PT0_PS3_
; %bb.0:
	s_load_dword s2, s[4:5], 0x24
	s_load_dwordx4 s[8:11], s[4:5], 0x0
	s_load_dwordx2 s[0:1], s[4:5], 0x10
	v_mov_b32_e32 v3, 0
	s_movk_i32 s4, 0x64
	s_waitcnt lgkmcnt(0)
	s_and_b32 s2, s2, 0xffff
	s_mul_i32 s6, s6, s2
	v_add_u32_e32 v2, s6, v0
	v_lshlrev_b64 v[0:1], 2, v[2:3]
	v_mov_b32_e32 v3, s9
	global_load_ubyte v11, v2, s[10:11]
	v_add_co_u32_e32 v2, vcc, s8, v0
	v_addc_co_u32_e32 v3, vcc, v3, v1, vcc
	global_load_dword v4, v[2:3], off
	v_mbcnt_lo_u32_b32 v2, -1, 0
	v_mbcnt_hi_u32_b32 v2, -1, v2
	s_mov_b32 s2, 0x11111112
	v_mul_hi_u32 v3, v2, s2
	v_mul_u32_u24_e32 v5, 15, v3
	v_sub_u32_e32 v6, v2, v5
	v_lshlrev_b64 v[2:3], v2, -1
	v_lshlrev_b32_e32 v7, 2, v6
	v_add_u32_e32 v8, 2, v6
	v_add_u32_e32 v9, 4, v6
	;; [unrolled: 1-line block ×3, first 2 shown]
	s_waitcnt vmcnt(1)
	v_cmp_ne_u16_e32 vcc, 0, v11
	v_cndmask_b32_e64 v11, 0, 1, vcc
	s_branch .LBB35_2
.LBB35_1:                               ;   in Loop: Header=BB35_2 Depth=1
	s_or_b64 exec, exec, s[2:3]
	s_add_i32 s4, s4, -1
	s_cmp_eq_u32 s4, 0
	; wave barrier
	s_cbranch_scc1 .LBB35_10
.LBB35_2:                               ; =>This Inner Loop Header: Depth=1
	v_cmp_ne_u32_e32 vcc, 0, v11
	s_lshr_b64 s[2:3], vcc, 1
	v_and_b32_e32 v13, s3, v3
	v_and_b32_e32 v12, s2, v2
	v_lshrrev_b64 v[12:13], v5, v[12:13]
	s_waitcnt vmcnt(0)
	ds_write_b32 v7, v4
	v_or_b32_e32 v12, 0x4000, v12
	v_ffbl_b32_e32 v13, v13
	v_add_u32_e32 v13, 32, v13
	v_ffbl_b32_e32 v12, v12
	v_min_u32_e32 v12, v12, v13
	v_cmp_lt_u32_e32 vcc, v6, v12
	; wave barrier
	s_and_saveexec_b64 s[2:3], vcc
	s_cbranch_execz .LBB35_4
; %bb.3:                                ;   in Loop: Header=BB35_2 Depth=1
	ds_read_b32 v13, v7 offset:4
	s_waitcnt lgkmcnt(0)
	v_add_u32_e32 v4, v13, v4
.LBB35_4:                               ;   in Loop: Header=BB35_2 Depth=1
	s_or_b64 exec, exec, s[2:3]
	v_cmp_le_u32_e32 vcc, v8, v12
	; wave barrier
	ds_write_b32 v7, v4
	; wave barrier
	s_and_saveexec_b64 s[2:3], vcc
	s_cbranch_execz .LBB35_6
; %bb.5:                                ;   in Loop: Header=BB35_2 Depth=1
	ds_read_b32 v13, v7 offset:8
	s_waitcnt lgkmcnt(0)
	v_add_u32_e32 v4, v13, v4
.LBB35_6:                               ;   in Loop: Header=BB35_2 Depth=1
	s_or_b64 exec, exec, s[2:3]
	v_cmp_le_u32_e32 vcc, v9, v12
	; wave barrier
	ds_write_b32 v7, v4
	;; [unrolled: 12-line block ×3, first 2 shown]
	; wave barrier
	s_and_saveexec_b64 s[2:3], vcc
	s_cbranch_execz .LBB35_1
; %bb.9:                                ;   in Loop: Header=BB35_2 Depth=1
	ds_read_b32 v12, v7 offset:32
	s_waitcnt lgkmcnt(0)
	v_add_u32_e32 v4, v12, v4
	s_branch .LBB35_1
.LBB35_10:
	v_mov_b32_e32 v2, s1
	v_add_co_u32_e32 v0, vcc, s0, v0
	v_addc_co_u32_e32 v1, vcc, v2, v1, vcc
	global_store_dword v[0:1], v4, off
	s_endpgm
	.section	.rodata,"a",@progbits
	.p2align	6, 0x0
	.amdhsa_kernel _Z28segmented_warp_reduce_kernelIihLj15ELj100EENSt9enable_ifIXsr15benchmark_utilsE35device_test_enabled_for_warp_size_vIXT1_EEEvE4typeEPKT_PT0_PS3_
		.amdhsa_group_segment_fixed_size 60
		.amdhsa_private_segment_fixed_size 0
		.amdhsa_kernarg_size 280
		.amdhsa_user_sgpr_count 6
		.amdhsa_user_sgpr_private_segment_buffer 1
		.amdhsa_user_sgpr_dispatch_ptr 0
		.amdhsa_user_sgpr_queue_ptr 0
		.amdhsa_user_sgpr_kernarg_segment_ptr 1
		.amdhsa_user_sgpr_dispatch_id 0
		.amdhsa_user_sgpr_flat_scratch_init 0
		.amdhsa_user_sgpr_private_segment_size 0
		.amdhsa_uses_dynamic_stack 0
		.amdhsa_system_sgpr_private_segment_wavefront_offset 0
		.amdhsa_system_sgpr_workgroup_id_x 1
		.amdhsa_system_sgpr_workgroup_id_y 0
		.amdhsa_system_sgpr_workgroup_id_z 0
		.amdhsa_system_sgpr_workgroup_info 0
		.amdhsa_system_vgpr_workitem_id 0
		.amdhsa_next_free_vgpr 14
		.amdhsa_next_free_sgpr 12
		.amdhsa_reserve_vcc 1
		.amdhsa_reserve_flat_scratch 0
		.amdhsa_float_round_mode_32 0
		.amdhsa_float_round_mode_16_64 0
		.amdhsa_float_denorm_mode_32 3
		.amdhsa_float_denorm_mode_16_64 3
		.amdhsa_dx10_clamp 1
		.amdhsa_ieee_mode 1
		.amdhsa_fp16_overflow 0
		.amdhsa_exception_fp_ieee_invalid_op 0
		.amdhsa_exception_fp_denorm_src 0
		.amdhsa_exception_fp_ieee_div_zero 0
		.amdhsa_exception_fp_ieee_overflow 0
		.amdhsa_exception_fp_ieee_underflow 0
		.amdhsa_exception_fp_ieee_inexact 0
		.amdhsa_exception_int_div_zero 0
	.end_amdhsa_kernel
	.section	.text._Z28segmented_warp_reduce_kernelIihLj15ELj100EENSt9enable_ifIXsr15benchmark_utilsE35device_test_enabled_for_warp_size_vIXT1_EEEvE4typeEPKT_PT0_PS3_,"axG",@progbits,_Z28segmented_warp_reduce_kernelIihLj15ELj100EENSt9enable_ifIXsr15benchmark_utilsE35device_test_enabled_for_warp_size_vIXT1_EEEvE4typeEPKT_PT0_PS3_,comdat
.Lfunc_end35:
	.size	_Z28segmented_warp_reduce_kernelIihLj15ELj100EENSt9enable_ifIXsr15benchmark_utilsE35device_test_enabled_for_warp_size_vIXT1_EEEvE4typeEPKT_PT0_PS3_, .Lfunc_end35-_Z28segmented_warp_reduce_kernelIihLj15ELj100EENSt9enable_ifIXsr15benchmark_utilsE35device_test_enabled_for_warp_size_vIXT1_EEEvE4typeEPKT_PT0_PS3_
                                        ; -- End function
	.set _Z28segmented_warp_reduce_kernelIihLj15ELj100EENSt9enable_ifIXsr15benchmark_utilsE35device_test_enabled_for_warp_size_vIXT1_EEEvE4typeEPKT_PT0_PS3_.num_vgpr, 14
	.set _Z28segmented_warp_reduce_kernelIihLj15ELj100EENSt9enable_ifIXsr15benchmark_utilsE35device_test_enabled_for_warp_size_vIXT1_EEEvE4typeEPKT_PT0_PS3_.num_agpr, 0
	.set _Z28segmented_warp_reduce_kernelIihLj15ELj100EENSt9enable_ifIXsr15benchmark_utilsE35device_test_enabled_for_warp_size_vIXT1_EEEvE4typeEPKT_PT0_PS3_.numbered_sgpr, 12
	.set _Z28segmented_warp_reduce_kernelIihLj15ELj100EENSt9enable_ifIXsr15benchmark_utilsE35device_test_enabled_for_warp_size_vIXT1_EEEvE4typeEPKT_PT0_PS3_.num_named_barrier, 0
	.set _Z28segmented_warp_reduce_kernelIihLj15ELj100EENSt9enable_ifIXsr15benchmark_utilsE35device_test_enabled_for_warp_size_vIXT1_EEEvE4typeEPKT_PT0_PS3_.private_seg_size, 0
	.set _Z28segmented_warp_reduce_kernelIihLj15ELj100EENSt9enable_ifIXsr15benchmark_utilsE35device_test_enabled_for_warp_size_vIXT1_EEEvE4typeEPKT_PT0_PS3_.uses_vcc, 1
	.set _Z28segmented_warp_reduce_kernelIihLj15ELj100EENSt9enable_ifIXsr15benchmark_utilsE35device_test_enabled_for_warp_size_vIXT1_EEEvE4typeEPKT_PT0_PS3_.uses_flat_scratch, 0
	.set _Z28segmented_warp_reduce_kernelIihLj15ELj100EENSt9enable_ifIXsr15benchmark_utilsE35device_test_enabled_for_warp_size_vIXT1_EEEvE4typeEPKT_PT0_PS3_.has_dyn_sized_stack, 0
	.set _Z28segmented_warp_reduce_kernelIihLj15ELj100EENSt9enable_ifIXsr15benchmark_utilsE35device_test_enabled_for_warp_size_vIXT1_EEEvE4typeEPKT_PT0_PS3_.has_recursion, 0
	.set _Z28segmented_warp_reduce_kernelIihLj15ELj100EENSt9enable_ifIXsr15benchmark_utilsE35device_test_enabled_for_warp_size_vIXT1_EEEvE4typeEPKT_PT0_PS3_.has_indirect_call, 0
	.section	.AMDGPU.csdata,"",@progbits
; Kernel info:
; codeLenInByte = 424
; TotalNumSgprs: 16
; NumVgprs: 14
; ScratchSize: 0
; MemoryBound: 0
; FloatMode: 240
; IeeeMode: 1
; LDSByteSize: 60 bytes/workgroup (compile time only)
; SGPRBlocks: 1
; VGPRBlocks: 3
; NumSGPRsForWavesPerEU: 16
; NumVGPRsForWavesPerEU: 14
; Occupancy: 10
; WaveLimiterHint : 0
; COMPUTE_PGM_RSRC2:SCRATCH_EN: 0
; COMPUTE_PGM_RSRC2:USER_SGPR: 6
; COMPUTE_PGM_RSRC2:TRAP_HANDLER: 0
; COMPUTE_PGM_RSRC2:TGID_X_EN: 1
; COMPUTE_PGM_RSRC2:TGID_Y_EN: 0
; COMPUTE_PGM_RSRC2:TGID_Z_EN: 0
; COMPUTE_PGM_RSRC2:TIDIG_COMP_CNT: 0
	.section	.text._Z28segmented_warp_reduce_kernelIihLj16ELj100EENSt9enable_ifIXsr15benchmark_utilsE35device_test_enabled_for_warp_size_vIXT1_EEEvE4typeEPKT_PT0_PS3_,"axG",@progbits,_Z28segmented_warp_reduce_kernelIihLj16ELj100EENSt9enable_ifIXsr15benchmark_utilsE35device_test_enabled_for_warp_size_vIXT1_EEEvE4typeEPKT_PT0_PS3_,comdat
	.protected	_Z28segmented_warp_reduce_kernelIihLj16ELj100EENSt9enable_ifIXsr15benchmark_utilsE35device_test_enabled_for_warp_size_vIXT1_EEEvE4typeEPKT_PT0_PS3_ ; -- Begin function _Z28segmented_warp_reduce_kernelIihLj16ELj100EENSt9enable_ifIXsr15benchmark_utilsE35device_test_enabled_for_warp_size_vIXT1_EEEvE4typeEPKT_PT0_PS3_
	.globl	_Z28segmented_warp_reduce_kernelIihLj16ELj100EENSt9enable_ifIXsr15benchmark_utilsE35device_test_enabled_for_warp_size_vIXT1_EEEvE4typeEPKT_PT0_PS3_
	.p2align	8
	.type	_Z28segmented_warp_reduce_kernelIihLj16ELj100EENSt9enable_ifIXsr15benchmark_utilsE35device_test_enabled_for_warp_size_vIXT1_EEEvE4typeEPKT_PT0_PS3_,@function
_Z28segmented_warp_reduce_kernelIihLj16ELj100EENSt9enable_ifIXsr15benchmark_utilsE35device_test_enabled_for_warp_size_vIXT1_EEEvE4typeEPKT_PT0_PS3_: ; @_Z28segmented_warp_reduce_kernelIihLj16ELj100EENSt9enable_ifIXsr15benchmark_utilsE35device_test_enabled_for_warp_size_vIXT1_EEEvE4typeEPKT_PT0_PS3_
; %bb.0:
	s_load_dword s2, s[4:5], 0x24
	s_load_dwordx4 s[8:11], s[4:5], 0x0
	s_load_dwordx2 s[0:1], s[4:5], 0x10
	v_mov_b32_e32 v1, 0
	s_waitcnt lgkmcnt(0)
	s_and_b32 s2, s2, 0xffff
	s_mul_i32 s6, s6, s2
	v_add_u32_e32 v0, s6, v0
	global_load_ubyte v13, v0, s[10:11]
	v_lshlrev_b64 v[0:1], 2, v[0:1]
	v_mov_b32_e32 v3, s9
	v_add_co_u32_e32 v2, vcc, s8, v0
	v_addc_co_u32_e32 v3, vcc, v3, v1, vcc
	global_load_dword v5, v[2:3], off
	v_mbcnt_lo_u32_b32 v2, -1, 0
	v_mbcnt_hi_u32_b32 v12, -1, v2
	v_and_b32_e32 v4, 15, v12
	v_cmp_ne_u32_e32 vcc, 15, v4
	v_addc_co_u32_e32 v10, vcc, 0, v12, vcc
	v_cmp_gt_u32_e32 vcc, 14, v4
	v_cndmask_b32_e64 v11, 0, 2, vcc
	v_cmp_gt_u32_e32 vcc, 12, v4
	v_cndmask_b32_e64 v15, 0, 4, vcc
	v_lshlrev_b64 v[2:3], v12, -1
	v_and_b32_e32 v14, 0x70, v12
	v_lshl_or_b32 v6, v12, 2, 32
	v_add_u32_e32 v7, 2, v4
	v_add_u32_e32 v8, 4, v4
	;; [unrolled: 1-line block ×3, first 2 shown]
	v_lshlrev_b32_e32 v10, 2, v10
	v_add_lshl_u32 v11, v11, v12, 2
	v_add_lshl_u32 v12, v15, v12, 2
	s_waitcnt vmcnt(1)
	v_cmp_ne_u16_e32 vcc, 0, v13
	v_cndmask_b32_e64 v13, 0, 1, vcc
	v_cmp_ne_u32_e32 vcc, 0, v13
	s_lshr_b64 s[2:3], vcc, 1
	v_and_b32_e32 v3, s3, v3
	v_and_b32_e32 v2, s2, v2
	v_lshrrev_b64 v[2:3], v14, v[2:3]
	s_movk_i32 s2, 0x64
	v_or_b32_e32 v2, 0x8000, v2
	v_ffbl_b32_e32 v2, v2
.LBB36_1:                               ; =>This Inner Loop Header: Depth=1
	s_waitcnt vmcnt(0)
	ds_bpermute_b32 v13, v10, v5
	v_ffbl_b32_e32 v14, v3
	v_add_u32_e32 v14, 32, v14
	v_min_u32_e32 v14, v2, v14
	v_cmp_lt_u32_e32 vcc, v4, v14
	s_waitcnt lgkmcnt(0)
	v_cndmask_b32_e32 v13, 0, v13, vcc
	v_add_u32_e32 v5, v13, v5
	ds_bpermute_b32 v13, v11, v5
	v_cmp_le_u32_e32 vcc, v7, v14
	s_add_i32 s2, s2, -1
	s_cmp_eq_u32 s2, 0
	s_waitcnt lgkmcnt(0)
	v_cndmask_b32_e32 v13, 0, v13, vcc
	v_add_u32_e32 v5, v5, v13
	ds_bpermute_b32 v13, v12, v5
	v_cmp_le_u32_e32 vcc, v8, v14
	s_waitcnt lgkmcnt(0)
	v_cndmask_b32_e32 v13, 0, v13, vcc
	v_add_u32_e32 v5, v5, v13
	ds_bpermute_b32 v13, v6, v5
	v_cmp_le_u32_e32 vcc, v9, v14
	s_waitcnt lgkmcnt(0)
	v_cndmask_b32_e32 v13, 0, v13, vcc
	v_add_u32_e32 v5, v5, v13
	s_cbranch_scc0 .LBB36_1
; %bb.2:
	v_mov_b32_e32 v2, s1
	v_add_co_u32_e32 v0, vcc, s0, v0
	v_addc_co_u32_e32 v1, vcc, v2, v1, vcc
	global_store_dword v[0:1], v5, off
	s_endpgm
	.section	.rodata,"a",@progbits
	.p2align	6, 0x0
	.amdhsa_kernel _Z28segmented_warp_reduce_kernelIihLj16ELj100EENSt9enable_ifIXsr15benchmark_utilsE35device_test_enabled_for_warp_size_vIXT1_EEEvE4typeEPKT_PT0_PS3_
		.amdhsa_group_segment_fixed_size 0
		.amdhsa_private_segment_fixed_size 0
		.amdhsa_kernarg_size 280
		.amdhsa_user_sgpr_count 6
		.amdhsa_user_sgpr_private_segment_buffer 1
		.amdhsa_user_sgpr_dispatch_ptr 0
		.amdhsa_user_sgpr_queue_ptr 0
		.amdhsa_user_sgpr_kernarg_segment_ptr 1
		.amdhsa_user_sgpr_dispatch_id 0
		.amdhsa_user_sgpr_flat_scratch_init 0
		.amdhsa_user_sgpr_private_segment_size 0
		.amdhsa_uses_dynamic_stack 0
		.amdhsa_system_sgpr_private_segment_wavefront_offset 0
		.amdhsa_system_sgpr_workgroup_id_x 1
		.amdhsa_system_sgpr_workgroup_id_y 0
		.amdhsa_system_sgpr_workgroup_id_z 0
		.amdhsa_system_sgpr_workgroup_info 0
		.amdhsa_system_vgpr_workitem_id 0
		.amdhsa_next_free_vgpr 16
		.amdhsa_next_free_sgpr 12
		.amdhsa_reserve_vcc 1
		.amdhsa_reserve_flat_scratch 0
		.amdhsa_float_round_mode_32 0
		.amdhsa_float_round_mode_16_64 0
		.amdhsa_float_denorm_mode_32 3
		.amdhsa_float_denorm_mode_16_64 3
		.amdhsa_dx10_clamp 1
		.amdhsa_ieee_mode 1
		.amdhsa_fp16_overflow 0
		.amdhsa_exception_fp_ieee_invalid_op 0
		.amdhsa_exception_fp_denorm_src 0
		.amdhsa_exception_fp_ieee_div_zero 0
		.amdhsa_exception_fp_ieee_overflow 0
		.amdhsa_exception_fp_ieee_underflow 0
		.amdhsa_exception_fp_ieee_inexact 0
		.amdhsa_exception_int_div_zero 0
	.end_amdhsa_kernel
	.section	.text._Z28segmented_warp_reduce_kernelIihLj16ELj100EENSt9enable_ifIXsr15benchmark_utilsE35device_test_enabled_for_warp_size_vIXT1_EEEvE4typeEPKT_PT0_PS3_,"axG",@progbits,_Z28segmented_warp_reduce_kernelIihLj16ELj100EENSt9enable_ifIXsr15benchmark_utilsE35device_test_enabled_for_warp_size_vIXT1_EEEvE4typeEPKT_PT0_PS3_,comdat
.Lfunc_end36:
	.size	_Z28segmented_warp_reduce_kernelIihLj16ELj100EENSt9enable_ifIXsr15benchmark_utilsE35device_test_enabled_for_warp_size_vIXT1_EEEvE4typeEPKT_PT0_PS3_, .Lfunc_end36-_Z28segmented_warp_reduce_kernelIihLj16ELj100EENSt9enable_ifIXsr15benchmark_utilsE35device_test_enabled_for_warp_size_vIXT1_EEEvE4typeEPKT_PT0_PS3_
                                        ; -- End function
	.set _Z28segmented_warp_reduce_kernelIihLj16ELj100EENSt9enable_ifIXsr15benchmark_utilsE35device_test_enabled_for_warp_size_vIXT1_EEEvE4typeEPKT_PT0_PS3_.num_vgpr, 16
	.set _Z28segmented_warp_reduce_kernelIihLj16ELj100EENSt9enable_ifIXsr15benchmark_utilsE35device_test_enabled_for_warp_size_vIXT1_EEEvE4typeEPKT_PT0_PS3_.num_agpr, 0
	.set _Z28segmented_warp_reduce_kernelIihLj16ELj100EENSt9enable_ifIXsr15benchmark_utilsE35device_test_enabled_for_warp_size_vIXT1_EEEvE4typeEPKT_PT0_PS3_.numbered_sgpr, 12
	.set _Z28segmented_warp_reduce_kernelIihLj16ELj100EENSt9enable_ifIXsr15benchmark_utilsE35device_test_enabled_for_warp_size_vIXT1_EEEvE4typeEPKT_PT0_PS3_.num_named_barrier, 0
	.set _Z28segmented_warp_reduce_kernelIihLj16ELj100EENSt9enable_ifIXsr15benchmark_utilsE35device_test_enabled_for_warp_size_vIXT1_EEEvE4typeEPKT_PT0_PS3_.private_seg_size, 0
	.set _Z28segmented_warp_reduce_kernelIihLj16ELj100EENSt9enable_ifIXsr15benchmark_utilsE35device_test_enabled_for_warp_size_vIXT1_EEEvE4typeEPKT_PT0_PS3_.uses_vcc, 1
	.set _Z28segmented_warp_reduce_kernelIihLj16ELj100EENSt9enable_ifIXsr15benchmark_utilsE35device_test_enabled_for_warp_size_vIXT1_EEEvE4typeEPKT_PT0_PS3_.uses_flat_scratch, 0
	.set _Z28segmented_warp_reduce_kernelIihLj16ELj100EENSt9enable_ifIXsr15benchmark_utilsE35device_test_enabled_for_warp_size_vIXT1_EEEvE4typeEPKT_PT0_PS3_.has_dyn_sized_stack, 0
	.set _Z28segmented_warp_reduce_kernelIihLj16ELj100EENSt9enable_ifIXsr15benchmark_utilsE35device_test_enabled_for_warp_size_vIXT1_EEEvE4typeEPKT_PT0_PS3_.has_recursion, 0
	.set _Z28segmented_warp_reduce_kernelIihLj16ELj100EENSt9enable_ifIXsr15benchmark_utilsE35device_test_enabled_for_warp_size_vIXT1_EEEvE4typeEPKT_PT0_PS3_.has_indirect_call, 0
	.section	.AMDGPU.csdata,"",@progbits
; Kernel info:
; codeLenInByte = 396
; TotalNumSgprs: 16
; NumVgprs: 16
; ScratchSize: 0
; MemoryBound: 0
; FloatMode: 240
; IeeeMode: 1
; LDSByteSize: 0 bytes/workgroup (compile time only)
; SGPRBlocks: 1
; VGPRBlocks: 3
; NumSGPRsForWavesPerEU: 16
; NumVGPRsForWavesPerEU: 16
; Occupancy: 10
; WaveLimiterHint : 0
; COMPUTE_PGM_RSRC2:SCRATCH_EN: 0
; COMPUTE_PGM_RSRC2:USER_SGPR: 6
; COMPUTE_PGM_RSRC2:TRAP_HANDLER: 0
; COMPUTE_PGM_RSRC2:TGID_X_EN: 1
; COMPUTE_PGM_RSRC2:TGID_Y_EN: 0
; COMPUTE_PGM_RSRC2:TGID_Z_EN: 0
; COMPUTE_PGM_RSRC2:TIDIG_COMP_CNT: 0
	.section	.text._Z28segmented_warp_reduce_kernelIihLj31ELj100EENSt9enable_ifIXsr15benchmark_utilsE35device_test_enabled_for_warp_size_vIXT1_EEEvE4typeEPKT_PT0_PS3_,"axG",@progbits,_Z28segmented_warp_reduce_kernelIihLj31ELj100EENSt9enable_ifIXsr15benchmark_utilsE35device_test_enabled_for_warp_size_vIXT1_EEEvE4typeEPKT_PT0_PS3_,comdat
	.protected	_Z28segmented_warp_reduce_kernelIihLj31ELj100EENSt9enable_ifIXsr15benchmark_utilsE35device_test_enabled_for_warp_size_vIXT1_EEEvE4typeEPKT_PT0_PS3_ ; -- Begin function _Z28segmented_warp_reduce_kernelIihLj31ELj100EENSt9enable_ifIXsr15benchmark_utilsE35device_test_enabled_for_warp_size_vIXT1_EEEvE4typeEPKT_PT0_PS3_
	.globl	_Z28segmented_warp_reduce_kernelIihLj31ELj100EENSt9enable_ifIXsr15benchmark_utilsE35device_test_enabled_for_warp_size_vIXT1_EEEvE4typeEPKT_PT0_PS3_
	.p2align	8
	.type	_Z28segmented_warp_reduce_kernelIihLj31ELj100EENSt9enable_ifIXsr15benchmark_utilsE35device_test_enabled_for_warp_size_vIXT1_EEEvE4typeEPKT_PT0_PS3_,@function
_Z28segmented_warp_reduce_kernelIihLj31ELj100EENSt9enable_ifIXsr15benchmark_utilsE35device_test_enabled_for_warp_size_vIXT1_EEEvE4typeEPKT_PT0_PS3_: ; @_Z28segmented_warp_reduce_kernelIihLj31ELj100EENSt9enable_ifIXsr15benchmark_utilsE35device_test_enabled_for_warp_size_vIXT1_EEEvE4typeEPKT_PT0_PS3_
; %bb.0:
	s_load_dword s2, s[4:5], 0x24
	s_load_dwordx4 s[8:11], s[4:5], 0x0
	s_load_dwordx2 s[0:1], s[4:5], 0x10
	v_mov_b32_e32 v3, 0
	s_movk_i32 s4, 0x64
	s_waitcnt lgkmcnt(0)
	s_and_b32 s2, s2, 0xffff
	s_mul_i32 s6, s6, s2
	v_add_u32_e32 v2, s6, v0
	v_lshlrev_b64 v[0:1], 2, v[2:3]
	v_mov_b32_e32 v3, s9
	global_load_ubyte v12, v2, s[10:11]
	v_add_co_u32_e32 v2, vcc, s8, v0
	v_addc_co_u32_e32 v3, vcc, v3, v1, vcc
	global_load_dword v4, v[2:3], off
	v_mbcnt_lo_u32_b32 v2, -1, 0
	v_mbcnt_hi_u32_b32 v2, -1, v2
	s_mov_b32 s2, 0x8421085
	v_mul_hi_u32 v3, v2, s2
	v_mul_u32_u24_e32 v5, 31, v3
	v_sub_u32_e32 v6, v2, v5
	v_lshlrev_b64 v[2:3], v2, -1
	v_lshlrev_b32_e32 v7, 2, v6
	v_add_u32_e32 v8, 2, v6
	v_add_u32_e32 v9, 4, v6
	;; [unrolled: 1-line block ×4, first 2 shown]
	s_waitcnt vmcnt(1)
	v_cmp_ne_u16_e32 vcc, 0, v12
	v_cndmask_b32_e64 v12, 0, 1, vcc
	s_branch .LBB37_2
.LBB37_1:                               ;   in Loop: Header=BB37_2 Depth=1
	s_or_b64 exec, exec, s[2:3]
	s_add_i32 s4, s4, -1
	s_cmp_eq_u32 s4, 0
	; wave barrier
	s_cbranch_scc1 .LBB37_12
.LBB37_2:                               ; =>This Inner Loop Header: Depth=1
	v_cmp_ne_u32_e32 vcc, 0, v12
	s_lshr_b64 s[2:3], vcc, 1
	v_and_b32_e32 v14, s3, v3
	v_and_b32_e32 v13, s2, v2
	v_lshrrev_b64 v[13:14], v5, v[13:14]
	s_waitcnt vmcnt(0)
	ds_write_b32 v7, v4
	v_or_b32_e32 v13, 2.0, v13
	v_ffbl_b32_e32 v14, v14
	v_add_u32_e32 v14, 32, v14
	v_ffbl_b32_e32 v13, v13
	v_min_u32_e32 v13, v13, v14
	v_cmp_lt_u32_e32 vcc, v6, v13
	; wave barrier
	s_and_saveexec_b64 s[2:3], vcc
	s_cbranch_execz .LBB37_4
; %bb.3:                                ;   in Loop: Header=BB37_2 Depth=1
	ds_read_b32 v14, v7 offset:4
	s_waitcnt lgkmcnt(0)
	v_add_u32_e32 v4, v14, v4
.LBB37_4:                               ;   in Loop: Header=BB37_2 Depth=1
	s_or_b64 exec, exec, s[2:3]
	v_cmp_le_u32_e32 vcc, v8, v13
	; wave barrier
	ds_write_b32 v7, v4
	; wave barrier
	s_and_saveexec_b64 s[2:3], vcc
	s_cbranch_execz .LBB37_6
; %bb.5:                                ;   in Loop: Header=BB37_2 Depth=1
	ds_read_b32 v14, v7 offset:8
	s_waitcnt lgkmcnt(0)
	v_add_u32_e32 v4, v14, v4
.LBB37_6:                               ;   in Loop: Header=BB37_2 Depth=1
	s_or_b64 exec, exec, s[2:3]
	v_cmp_le_u32_e32 vcc, v9, v13
	; wave barrier
	ds_write_b32 v7, v4
	; wave barrier
	s_and_saveexec_b64 s[2:3], vcc
	s_cbranch_execz .LBB37_8
; %bb.7:                                ;   in Loop: Header=BB37_2 Depth=1
	ds_read_b32 v14, v7 offset:16
	s_waitcnt lgkmcnt(0)
	v_add_u32_e32 v4, v14, v4
.LBB37_8:                               ;   in Loop: Header=BB37_2 Depth=1
	s_or_b64 exec, exec, s[2:3]
	v_cmp_le_u32_e32 vcc, v10, v13
	; wave barrier
	ds_write_b32 v7, v4
	; wave barrier
	s_and_saveexec_b64 s[2:3], vcc
	s_cbranch_execz .LBB37_10
; %bb.9:                                ;   in Loop: Header=BB37_2 Depth=1
	ds_read_b32 v14, v7 offset:32
	s_waitcnt lgkmcnt(0)
	v_add_u32_e32 v4, v14, v4
.LBB37_10:                              ;   in Loop: Header=BB37_2 Depth=1
	s_or_b64 exec, exec, s[2:3]
	v_cmp_le_u32_e32 vcc, v11, v13
	; wave barrier
	ds_write_b32 v7, v4
	; wave barrier
	s_and_saveexec_b64 s[2:3], vcc
	s_cbranch_execz .LBB37_1
; %bb.11:                               ;   in Loop: Header=BB37_2 Depth=1
	ds_read_b32 v13, v7 offset:64
	s_waitcnt lgkmcnt(0)
	v_add_u32_e32 v4, v13, v4
	s_branch .LBB37_1
.LBB37_12:
	v_mov_b32_e32 v2, s1
	v_add_co_u32_e32 v0, vcc, s0, v0
	v_addc_co_u32_e32 v1, vcc, v2, v1, vcc
	global_store_dword v[0:1], v4, off
	s_endpgm
	.section	.rodata,"a",@progbits
	.p2align	6, 0x0
	.amdhsa_kernel _Z28segmented_warp_reduce_kernelIihLj31ELj100EENSt9enable_ifIXsr15benchmark_utilsE35device_test_enabled_for_warp_size_vIXT1_EEEvE4typeEPKT_PT0_PS3_
		.amdhsa_group_segment_fixed_size 124
		.amdhsa_private_segment_fixed_size 0
		.amdhsa_kernarg_size 280
		.amdhsa_user_sgpr_count 6
		.amdhsa_user_sgpr_private_segment_buffer 1
		.amdhsa_user_sgpr_dispatch_ptr 0
		.amdhsa_user_sgpr_queue_ptr 0
		.amdhsa_user_sgpr_kernarg_segment_ptr 1
		.amdhsa_user_sgpr_dispatch_id 0
		.amdhsa_user_sgpr_flat_scratch_init 0
		.amdhsa_user_sgpr_private_segment_size 0
		.amdhsa_uses_dynamic_stack 0
		.amdhsa_system_sgpr_private_segment_wavefront_offset 0
		.amdhsa_system_sgpr_workgroup_id_x 1
		.amdhsa_system_sgpr_workgroup_id_y 0
		.amdhsa_system_sgpr_workgroup_id_z 0
		.amdhsa_system_sgpr_workgroup_info 0
		.amdhsa_system_vgpr_workitem_id 0
		.amdhsa_next_free_vgpr 15
		.amdhsa_next_free_sgpr 12
		.amdhsa_reserve_vcc 1
		.amdhsa_reserve_flat_scratch 0
		.amdhsa_float_round_mode_32 0
		.amdhsa_float_round_mode_16_64 0
		.amdhsa_float_denorm_mode_32 3
		.amdhsa_float_denorm_mode_16_64 3
		.amdhsa_dx10_clamp 1
		.amdhsa_ieee_mode 1
		.amdhsa_fp16_overflow 0
		.amdhsa_exception_fp_ieee_invalid_op 0
		.amdhsa_exception_fp_denorm_src 0
		.amdhsa_exception_fp_ieee_div_zero 0
		.amdhsa_exception_fp_ieee_overflow 0
		.amdhsa_exception_fp_ieee_underflow 0
		.amdhsa_exception_fp_ieee_inexact 0
		.amdhsa_exception_int_div_zero 0
	.end_amdhsa_kernel
	.section	.text._Z28segmented_warp_reduce_kernelIihLj31ELj100EENSt9enable_ifIXsr15benchmark_utilsE35device_test_enabled_for_warp_size_vIXT1_EEEvE4typeEPKT_PT0_PS3_,"axG",@progbits,_Z28segmented_warp_reduce_kernelIihLj31ELj100EENSt9enable_ifIXsr15benchmark_utilsE35device_test_enabled_for_warp_size_vIXT1_EEEvE4typeEPKT_PT0_PS3_,comdat
.Lfunc_end37:
	.size	_Z28segmented_warp_reduce_kernelIihLj31ELj100EENSt9enable_ifIXsr15benchmark_utilsE35device_test_enabled_for_warp_size_vIXT1_EEEvE4typeEPKT_PT0_PS3_, .Lfunc_end37-_Z28segmented_warp_reduce_kernelIihLj31ELj100EENSt9enable_ifIXsr15benchmark_utilsE35device_test_enabled_for_warp_size_vIXT1_EEEvE4typeEPKT_PT0_PS3_
                                        ; -- End function
	.set _Z28segmented_warp_reduce_kernelIihLj31ELj100EENSt9enable_ifIXsr15benchmark_utilsE35device_test_enabled_for_warp_size_vIXT1_EEEvE4typeEPKT_PT0_PS3_.num_vgpr, 15
	.set _Z28segmented_warp_reduce_kernelIihLj31ELj100EENSt9enable_ifIXsr15benchmark_utilsE35device_test_enabled_for_warp_size_vIXT1_EEEvE4typeEPKT_PT0_PS3_.num_agpr, 0
	.set _Z28segmented_warp_reduce_kernelIihLj31ELj100EENSt9enable_ifIXsr15benchmark_utilsE35device_test_enabled_for_warp_size_vIXT1_EEEvE4typeEPKT_PT0_PS3_.numbered_sgpr, 12
	.set _Z28segmented_warp_reduce_kernelIihLj31ELj100EENSt9enable_ifIXsr15benchmark_utilsE35device_test_enabled_for_warp_size_vIXT1_EEEvE4typeEPKT_PT0_PS3_.num_named_barrier, 0
	.set _Z28segmented_warp_reduce_kernelIihLj31ELj100EENSt9enable_ifIXsr15benchmark_utilsE35device_test_enabled_for_warp_size_vIXT1_EEEvE4typeEPKT_PT0_PS3_.private_seg_size, 0
	.set _Z28segmented_warp_reduce_kernelIihLj31ELj100EENSt9enable_ifIXsr15benchmark_utilsE35device_test_enabled_for_warp_size_vIXT1_EEEvE4typeEPKT_PT0_PS3_.uses_vcc, 1
	.set _Z28segmented_warp_reduce_kernelIihLj31ELj100EENSt9enable_ifIXsr15benchmark_utilsE35device_test_enabled_for_warp_size_vIXT1_EEEvE4typeEPKT_PT0_PS3_.uses_flat_scratch, 0
	.set _Z28segmented_warp_reduce_kernelIihLj31ELj100EENSt9enable_ifIXsr15benchmark_utilsE35device_test_enabled_for_warp_size_vIXT1_EEEvE4typeEPKT_PT0_PS3_.has_dyn_sized_stack, 0
	.set _Z28segmented_warp_reduce_kernelIihLj31ELj100EENSt9enable_ifIXsr15benchmark_utilsE35device_test_enabled_for_warp_size_vIXT1_EEEvE4typeEPKT_PT0_PS3_.has_recursion, 0
	.set _Z28segmented_warp_reduce_kernelIihLj31ELj100EENSt9enable_ifIXsr15benchmark_utilsE35device_test_enabled_for_warp_size_vIXT1_EEEvE4typeEPKT_PT0_PS3_.has_indirect_call, 0
	.section	.AMDGPU.csdata,"",@progbits
; Kernel info:
; codeLenInByte = 464
; TotalNumSgprs: 16
; NumVgprs: 15
; ScratchSize: 0
; MemoryBound: 0
; FloatMode: 240
; IeeeMode: 1
; LDSByteSize: 124 bytes/workgroup (compile time only)
; SGPRBlocks: 1
; VGPRBlocks: 3
; NumSGPRsForWavesPerEU: 16
; NumVGPRsForWavesPerEU: 15
; Occupancy: 10
; WaveLimiterHint : 0
; COMPUTE_PGM_RSRC2:SCRATCH_EN: 0
; COMPUTE_PGM_RSRC2:USER_SGPR: 6
; COMPUTE_PGM_RSRC2:TRAP_HANDLER: 0
; COMPUTE_PGM_RSRC2:TGID_X_EN: 1
; COMPUTE_PGM_RSRC2:TGID_Y_EN: 0
; COMPUTE_PGM_RSRC2:TGID_Z_EN: 0
; COMPUTE_PGM_RSRC2:TIDIG_COMP_CNT: 0
	.section	.text._Z28segmented_warp_reduce_kernelIihLj32ELj100EENSt9enable_ifIXsr15benchmark_utilsE35device_test_enabled_for_warp_size_vIXT1_EEEvE4typeEPKT_PT0_PS3_,"axG",@progbits,_Z28segmented_warp_reduce_kernelIihLj32ELj100EENSt9enable_ifIXsr15benchmark_utilsE35device_test_enabled_for_warp_size_vIXT1_EEEvE4typeEPKT_PT0_PS3_,comdat
	.protected	_Z28segmented_warp_reduce_kernelIihLj32ELj100EENSt9enable_ifIXsr15benchmark_utilsE35device_test_enabled_for_warp_size_vIXT1_EEEvE4typeEPKT_PT0_PS3_ ; -- Begin function _Z28segmented_warp_reduce_kernelIihLj32ELj100EENSt9enable_ifIXsr15benchmark_utilsE35device_test_enabled_for_warp_size_vIXT1_EEEvE4typeEPKT_PT0_PS3_
	.globl	_Z28segmented_warp_reduce_kernelIihLj32ELj100EENSt9enable_ifIXsr15benchmark_utilsE35device_test_enabled_for_warp_size_vIXT1_EEEvE4typeEPKT_PT0_PS3_
	.p2align	8
	.type	_Z28segmented_warp_reduce_kernelIihLj32ELj100EENSt9enable_ifIXsr15benchmark_utilsE35device_test_enabled_for_warp_size_vIXT1_EEEvE4typeEPKT_PT0_PS3_,@function
_Z28segmented_warp_reduce_kernelIihLj32ELj100EENSt9enable_ifIXsr15benchmark_utilsE35device_test_enabled_for_warp_size_vIXT1_EEEvE4typeEPKT_PT0_PS3_: ; @_Z28segmented_warp_reduce_kernelIihLj32ELj100EENSt9enable_ifIXsr15benchmark_utilsE35device_test_enabled_for_warp_size_vIXT1_EEEvE4typeEPKT_PT0_PS3_
; %bb.0:
	s_load_dword s0, s[4:5], 0x24
	s_load_dwordx4 s[8:11], s[4:5], 0x0
	s_load_dwordx2 s[2:3], s[4:5], 0x10
	v_mov_b32_e32 v3, 0
	s_movk_i32 s4, 0x64
	s_waitcnt lgkmcnt(0)
	s_and_b32 s0, s0, 0xffff
	s_mul_i32 s6, s6, s0
	v_add_u32_e32 v2, s6, v0
	v_lshlrev_b64 v[0:1], 2, v[2:3]
	v_mov_b32_e32 v3, s9
	global_load_ubyte v14, v2, s[10:11]
	v_add_co_u32_e32 v2, vcc, s8, v0
	v_addc_co_u32_e32 v3, vcc, v3, v1, vcc
	global_load_dword v7, v[2:3], off
	v_mbcnt_lo_u32_b32 v2, -1, 0
	v_mbcnt_hi_u32_b32 v15, -1, v2
	v_and_b32_e32 v5, 31, v15
	v_cmp_ne_u32_e32 vcc, 31, v5
	v_addc_co_u32_e32 v10, vcc, 0, v15, vcc
	v_cmp_gt_u32_e32 vcc, 30, v5
	v_cndmask_b32_e64 v11, 0, 2, vcc
	v_cmp_gt_u32_e32 vcc, 28, v5
	v_cndmask_b32_e64 v12, 0, 4, vcc
	v_cmp_gt_u32_e32 vcc, 24, v5
	v_lshlrev_b64 v[2:3], v15, -1
	v_cndmask_b32_e64 v13, 0, 8, vcc
	v_and_b32_e32 v4, 0x60, v15
	v_add_u32_e32 v6, 2, v5
	v_add_u32_e32 v8, 4, v5
	;; [unrolled: 1-line block ×3, first 2 shown]
	v_lshlrev_b32_e32 v10, 2, v10
	v_add_lshl_u32 v11, v11, v15, 2
	v_add_lshl_u32 v12, v12, v15, 2
	;; [unrolled: 1-line block ×3, first 2 shown]
	v_lshl_or_b32 v15, v15, 2, 64
	s_waitcnt vmcnt(1)
	v_cmp_ne_u16_e32 vcc, 0, v14
	v_add_u32_e32 v14, 16, v5
.LBB38_1:                               ; =>This Inner Loop Header: Depth=1
	v_cndmask_b32_e64 v16, 0, 1, vcc
	v_cmp_ne_u32_e64 s[0:1], 0, v16
	s_lshr_b64 s[0:1], s[0:1], 1
	v_and_b32_e32 v17, s1, v3
	v_and_b32_e32 v16, s0, v2
	v_lshrrev_b64 v[16:17], v4, v[16:17]
	s_waitcnt vmcnt(0)
	ds_bpermute_b32 v18, v10, v7
	v_or_b32_e32 v16, 0x80000000, v16
	v_ffbl_b32_e32 v17, v17
	v_add_u32_e32 v17, 32, v17
	v_ffbl_b32_e32 v16, v16
	v_min_u32_e32 v16, v16, v17
	v_cmp_lt_u32_e64 s[0:1], v5, v16
	s_waitcnt lgkmcnt(0)
	v_cndmask_b32_e64 v17, 0, v18, s[0:1]
	v_add_u32_e32 v7, v17, v7
	ds_bpermute_b32 v17, v11, v7
	v_cmp_le_u32_e64 s[0:1], v6, v16
	s_add_i32 s4, s4, -1
	s_cmp_eq_u32 s4, 0
	s_waitcnt lgkmcnt(0)
	v_cndmask_b32_e64 v17, 0, v17, s[0:1]
	v_add_u32_e32 v7, v7, v17
	ds_bpermute_b32 v17, v12, v7
	v_cmp_le_u32_e64 s[0:1], v8, v16
	s_waitcnt lgkmcnt(0)
	v_cndmask_b32_e64 v17, 0, v17, s[0:1]
	v_add_u32_e32 v7, v7, v17
	ds_bpermute_b32 v17, v13, v7
	v_cmp_le_u32_e64 s[0:1], v9, v16
	;; [unrolled: 5-line block ×3, first 2 shown]
	s_waitcnt lgkmcnt(0)
	v_cndmask_b32_e64 v16, 0, v17, s[0:1]
	v_add_u32_e32 v7, v7, v16
	s_cbranch_scc0 .LBB38_1
; %bb.2:
	v_mov_b32_e32 v2, s3
	v_add_co_u32_e32 v0, vcc, s2, v0
	v_addc_co_u32_e32 v1, vcc, v2, v1, vcc
	global_store_dword v[0:1], v7, off
	s_endpgm
	.section	.rodata,"a",@progbits
	.p2align	6, 0x0
	.amdhsa_kernel _Z28segmented_warp_reduce_kernelIihLj32ELj100EENSt9enable_ifIXsr15benchmark_utilsE35device_test_enabled_for_warp_size_vIXT1_EEEvE4typeEPKT_PT0_PS3_
		.amdhsa_group_segment_fixed_size 0
		.amdhsa_private_segment_fixed_size 0
		.amdhsa_kernarg_size 280
		.amdhsa_user_sgpr_count 6
		.amdhsa_user_sgpr_private_segment_buffer 1
		.amdhsa_user_sgpr_dispatch_ptr 0
		.amdhsa_user_sgpr_queue_ptr 0
		.amdhsa_user_sgpr_kernarg_segment_ptr 1
		.amdhsa_user_sgpr_dispatch_id 0
		.amdhsa_user_sgpr_flat_scratch_init 0
		.amdhsa_user_sgpr_private_segment_size 0
		.amdhsa_uses_dynamic_stack 0
		.amdhsa_system_sgpr_private_segment_wavefront_offset 0
		.amdhsa_system_sgpr_workgroup_id_x 1
		.amdhsa_system_sgpr_workgroup_id_y 0
		.amdhsa_system_sgpr_workgroup_id_z 0
		.amdhsa_system_sgpr_workgroup_info 0
		.amdhsa_system_vgpr_workitem_id 0
		.amdhsa_next_free_vgpr 19
		.amdhsa_next_free_sgpr 12
		.amdhsa_reserve_vcc 1
		.amdhsa_reserve_flat_scratch 0
		.amdhsa_float_round_mode_32 0
		.amdhsa_float_round_mode_16_64 0
		.amdhsa_float_denorm_mode_32 3
		.amdhsa_float_denorm_mode_16_64 3
		.amdhsa_dx10_clamp 1
		.amdhsa_ieee_mode 1
		.amdhsa_fp16_overflow 0
		.amdhsa_exception_fp_ieee_invalid_op 0
		.amdhsa_exception_fp_denorm_src 0
		.amdhsa_exception_fp_ieee_div_zero 0
		.amdhsa_exception_fp_ieee_overflow 0
		.amdhsa_exception_fp_ieee_underflow 0
		.amdhsa_exception_fp_ieee_inexact 0
		.amdhsa_exception_int_div_zero 0
	.end_amdhsa_kernel
	.section	.text._Z28segmented_warp_reduce_kernelIihLj32ELj100EENSt9enable_ifIXsr15benchmark_utilsE35device_test_enabled_for_warp_size_vIXT1_EEEvE4typeEPKT_PT0_PS3_,"axG",@progbits,_Z28segmented_warp_reduce_kernelIihLj32ELj100EENSt9enable_ifIXsr15benchmark_utilsE35device_test_enabled_for_warp_size_vIXT1_EEEvE4typeEPKT_PT0_PS3_,comdat
.Lfunc_end38:
	.size	_Z28segmented_warp_reduce_kernelIihLj32ELj100EENSt9enable_ifIXsr15benchmark_utilsE35device_test_enabled_for_warp_size_vIXT1_EEEvE4typeEPKT_PT0_PS3_, .Lfunc_end38-_Z28segmented_warp_reduce_kernelIihLj32ELj100EENSt9enable_ifIXsr15benchmark_utilsE35device_test_enabled_for_warp_size_vIXT1_EEEvE4typeEPKT_PT0_PS3_
                                        ; -- End function
	.set _Z28segmented_warp_reduce_kernelIihLj32ELj100EENSt9enable_ifIXsr15benchmark_utilsE35device_test_enabled_for_warp_size_vIXT1_EEEvE4typeEPKT_PT0_PS3_.num_vgpr, 19
	.set _Z28segmented_warp_reduce_kernelIihLj32ELj100EENSt9enable_ifIXsr15benchmark_utilsE35device_test_enabled_for_warp_size_vIXT1_EEEvE4typeEPKT_PT0_PS3_.num_agpr, 0
	.set _Z28segmented_warp_reduce_kernelIihLj32ELj100EENSt9enable_ifIXsr15benchmark_utilsE35device_test_enabled_for_warp_size_vIXT1_EEEvE4typeEPKT_PT0_PS3_.numbered_sgpr, 12
	.set _Z28segmented_warp_reduce_kernelIihLj32ELj100EENSt9enable_ifIXsr15benchmark_utilsE35device_test_enabled_for_warp_size_vIXT1_EEEvE4typeEPKT_PT0_PS3_.num_named_barrier, 0
	.set _Z28segmented_warp_reduce_kernelIihLj32ELj100EENSt9enable_ifIXsr15benchmark_utilsE35device_test_enabled_for_warp_size_vIXT1_EEEvE4typeEPKT_PT0_PS3_.private_seg_size, 0
	.set _Z28segmented_warp_reduce_kernelIihLj32ELj100EENSt9enable_ifIXsr15benchmark_utilsE35device_test_enabled_for_warp_size_vIXT1_EEEvE4typeEPKT_PT0_PS3_.uses_vcc, 1
	.set _Z28segmented_warp_reduce_kernelIihLj32ELj100EENSt9enable_ifIXsr15benchmark_utilsE35device_test_enabled_for_warp_size_vIXT1_EEEvE4typeEPKT_PT0_PS3_.uses_flat_scratch, 0
	.set _Z28segmented_warp_reduce_kernelIihLj32ELj100EENSt9enable_ifIXsr15benchmark_utilsE35device_test_enabled_for_warp_size_vIXT1_EEEvE4typeEPKT_PT0_PS3_.has_dyn_sized_stack, 0
	.set _Z28segmented_warp_reduce_kernelIihLj32ELj100EENSt9enable_ifIXsr15benchmark_utilsE35device_test_enabled_for_warp_size_vIXT1_EEEvE4typeEPKT_PT0_PS3_.has_recursion, 0
	.set _Z28segmented_warp_reduce_kernelIihLj32ELj100EENSt9enable_ifIXsr15benchmark_utilsE35device_test_enabled_for_warp_size_vIXT1_EEEvE4typeEPKT_PT0_PS3_.has_indirect_call, 0
	.section	.AMDGPU.csdata,"",@progbits
; Kernel info:
; codeLenInByte = 488
; TotalNumSgprs: 16
; NumVgprs: 19
; ScratchSize: 0
; MemoryBound: 0
; FloatMode: 240
; IeeeMode: 1
; LDSByteSize: 0 bytes/workgroup (compile time only)
; SGPRBlocks: 1
; VGPRBlocks: 4
; NumSGPRsForWavesPerEU: 16
; NumVGPRsForWavesPerEU: 19
; Occupancy: 10
; WaveLimiterHint : 0
; COMPUTE_PGM_RSRC2:SCRATCH_EN: 0
; COMPUTE_PGM_RSRC2:USER_SGPR: 6
; COMPUTE_PGM_RSRC2:TRAP_HANDLER: 0
; COMPUTE_PGM_RSRC2:TGID_X_EN: 1
; COMPUTE_PGM_RSRC2:TGID_Y_EN: 0
; COMPUTE_PGM_RSRC2:TGID_Z_EN: 0
; COMPUTE_PGM_RSRC2:TIDIG_COMP_CNT: 0
	.section	.text._Z28segmented_warp_reduce_kernelIihLj37ELj100EENSt9enable_ifIXsr15benchmark_utilsE35device_test_enabled_for_warp_size_vIXT1_EEEvE4typeEPKT_PT0_PS3_,"axG",@progbits,_Z28segmented_warp_reduce_kernelIihLj37ELj100EENSt9enable_ifIXsr15benchmark_utilsE35device_test_enabled_for_warp_size_vIXT1_EEEvE4typeEPKT_PT0_PS3_,comdat
	.protected	_Z28segmented_warp_reduce_kernelIihLj37ELj100EENSt9enable_ifIXsr15benchmark_utilsE35device_test_enabled_for_warp_size_vIXT1_EEEvE4typeEPKT_PT0_PS3_ ; -- Begin function _Z28segmented_warp_reduce_kernelIihLj37ELj100EENSt9enable_ifIXsr15benchmark_utilsE35device_test_enabled_for_warp_size_vIXT1_EEEvE4typeEPKT_PT0_PS3_
	.globl	_Z28segmented_warp_reduce_kernelIihLj37ELj100EENSt9enable_ifIXsr15benchmark_utilsE35device_test_enabled_for_warp_size_vIXT1_EEEvE4typeEPKT_PT0_PS3_
	.p2align	8
	.type	_Z28segmented_warp_reduce_kernelIihLj37ELj100EENSt9enable_ifIXsr15benchmark_utilsE35device_test_enabled_for_warp_size_vIXT1_EEEvE4typeEPKT_PT0_PS3_,@function
_Z28segmented_warp_reduce_kernelIihLj37ELj100EENSt9enable_ifIXsr15benchmark_utilsE35device_test_enabled_for_warp_size_vIXT1_EEEvE4typeEPKT_PT0_PS3_: ; @_Z28segmented_warp_reduce_kernelIihLj37ELj100EENSt9enable_ifIXsr15benchmark_utilsE35device_test_enabled_for_warp_size_vIXT1_EEEvE4typeEPKT_PT0_PS3_
; %bb.0:
	s_load_dword s2, s[4:5], 0x24
	s_load_dwordx4 s[8:11], s[4:5], 0x0
	s_load_dwordx2 s[0:1], s[4:5], 0x10
	v_mov_b32_e32 v3, 0
	s_movk_i32 s4, 0x64
	s_waitcnt lgkmcnt(0)
	s_and_b32 s2, s2, 0xffff
	s_mul_i32 s6, s6, s2
	v_add_u32_e32 v2, s6, v0
	v_lshlrev_b64 v[0:1], 2, v[2:3]
	v_mov_b32_e32 v3, s9
	global_load_ubyte v13, v2, s[10:11]
	v_add_co_u32_e32 v2, vcc, s8, v0
	v_addc_co_u32_e32 v3, vcc, v3, v1, vcc
	global_load_dword v4, v[2:3], off
	v_mbcnt_lo_u32_b32 v2, -1, 0
	v_mbcnt_hi_u32_b32 v2, -1, v2
	s_mov_b32 s2, 0x6eb3e46
	v_mul_hi_u32 v3, v2, s2
	v_mul_u32_u24_e32 v5, 37, v3
	v_sub_u32_e32 v6, v2, v5
	v_lshlrev_b64 v[2:3], v2, -1
	v_lshlrev_b32_e32 v7, 2, v6
	v_add_u32_e32 v8, 2, v6
	v_add_u32_e32 v9, 4, v6
	;; [unrolled: 1-line block ×5, first 2 shown]
	s_waitcnt vmcnt(1)
	v_cmp_ne_u16_e32 vcc, 0, v13
	v_cndmask_b32_e64 v13, 0, 1, vcc
	s_branch .LBB39_2
.LBB39_1:                               ;   in Loop: Header=BB39_2 Depth=1
	s_or_b64 exec, exec, s[2:3]
	s_add_i32 s4, s4, -1
	s_cmp_eq_u32 s4, 0
	; wave barrier
	s_cbranch_scc1 .LBB39_14
.LBB39_2:                               ; =>This Inner Loop Header: Depth=1
	v_cmp_ne_u32_e32 vcc, 0, v13
	s_lshr_b64 s[2:3], vcc, 1
	v_and_b32_e32 v15, s3, v3
	v_and_b32_e32 v14, s2, v2
	v_lshrrev_b64 v[14:15], v5, v[14:15]
	s_waitcnt vmcnt(0)
	ds_write_b32 v7, v4
	v_or_b32_e32 v15, 16, v15
	v_ffbl_b32_e32 v15, v15
	v_add_u32_e32 v15, 32, v15
	v_ffbl_b32_e32 v14, v14
	v_min_u32_e32 v14, v14, v15
	v_cmp_lt_u32_e32 vcc, v6, v14
	; wave barrier
	s_and_saveexec_b64 s[2:3], vcc
	s_cbranch_execz .LBB39_4
; %bb.3:                                ;   in Loop: Header=BB39_2 Depth=1
	ds_read_b32 v15, v7 offset:4
	s_waitcnt lgkmcnt(0)
	v_add_u32_e32 v4, v15, v4
.LBB39_4:                               ;   in Loop: Header=BB39_2 Depth=1
	s_or_b64 exec, exec, s[2:3]
	v_cmp_le_u32_e32 vcc, v8, v14
	; wave barrier
	ds_write_b32 v7, v4
	; wave barrier
	s_and_saveexec_b64 s[2:3], vcc
	s_cbranch_execz .LBB39_6
; %bb.5:                                ;   in Loop: Header=BB39_2 Depth=1
	ds_read_b32 v15, v7 offset:8
	s_waitcnt lgkmcnt(0)
	v_add_u32_e32 v4, v15, v4
.LBB39_6:                               ;   in Loop: Header=BB39_2 Depth=1
	s_or_b64 exec, exec, s[2:3]
	v_cmp_le_u32_e32 vcc, v9, v14
	; wave barrier
	ds_write_b32 v7, v4
	;; [unrolled: 12-line block ×3, first 2 shown]
	; wave barrier
	s_and_saveexec_b64 s[2:3], vcc
	s_cbranch_execz .LBB39_10
; %bb.9:                                ;   in Loop: Header=BB39_2 Depth=1
	ds_read_b32 v15, v7 offset:32
	s_waitcnt lgkmcnt(0)
	v_add_u32_e32 v4, v15, v4
.LBB39_10:                              ;   in Loop: Header=BB39_2 Depth=1
	s_or_b64 exec, exec, s[2:3]
	v_cmp_le_u32_e32 vcc, v11, v14
	; wave barrier
	ds_write_b32 v7, v4
	; wave barrier
	s_and_saveexec_b64 s[2:3], vcc
	s_cbranch_execz .LBB39_12
; %bb.11:                               ;   in Loop: Header=BB39_2 Depth=1
	ds_read_b32 v15, v7 offset:64
	s_waitcnt lgkmcnt(0)
	v_add_u32_e32 v4, v15, v4
.LBB39_12:                              ;   in Loop: Header=BB39_2 Depth=1
	s_or_b64 exec, exec, s[2:3]
	v_cmp_le_u32_e32 vcc, v12, v14
	; wave barrier
	ds_write_b32 v7, v4
	; wave barrier
	s_and_saveexec_b64 s[2:3], vcc
	s_cbranch_execz .LBB39_1
; %bb.13:                               ;   in Loop: Header=BB39_2 Depth=1
	ds_read_b32 v14, v7 offset:128
	s_waitcnt lgkmcnt(0)
	v_add_u32_e32 v4, v14, v4
	s_branch .LBB39_1
.LBB39_14:
	v_mov_b32_e32 v2, s1
	v_add_co_u32_e32 v0, vcc, s0, v0
	v_addc_co_u32_e32 v1, vcc, v2, v1, vcc
	global_store_dword v[0:1], v4, off
	s_endpgm
	.section	.rodata,"a",@progbits
	.p2align	6, 0x0
	.amdhsa_kernel _Z28segmented_warp_reduce_kernelIihLj37ELj100EENSt9enable_ifIXsr15benchmark_utilsE35device_test_enabled_for_warp_size_vIXT1_EEEvE4typeEPKT_PT0_PS3_
		.amdhsa_group_segment_fixed_size 148
		.amdhsa_private_segment_fixed_size 0
		.amdhsa_kernarg_size 280
		.amdhsa_user_sgpr_count 6
		.amdhsa_user_sgpr_private_segment_buffer 1
		.amdhsa_user_sgpr_dispatch_ptr 0
		.amdhsa_user_sgpr_queue_ptr 0
		.amdhsa_user_sgpr_kernarg_segment_ptr 1
		.amdhsa_user_sgpr_dispatch_id 0
		.amdhsa_user_sgpr_flat_scratch_init 0
		.amdhsa_user_sgpr_private_segment_size 0
		.amdhsa_uses_dynamic_stack 0
		.amdhsa_system_sgpr_private_segment_wavefront_offset 0
		.amdhsa_system_sgpr_workgroup_id_x 1
		.amdhsa_system_sgpr_workgroup_id_y 0
		.amdhsa_system_sgpr_workgroup_id_z 0
		.amdhsa_system_sgpr_workgroup_info 0
		.amdhsa_system_vgpr_workitem_id 0
		.amdhsa_next_free_vgpr 16
		.amdhsa_next_free_sgpr 12
		.amdhsa_reserve_vcc 1
		.amdhsa_reserve_flat_scratch 0
		.amdhsa_float_round_mode_32 0
		.amdhsa_float_round_mode_16_64 0
		.amdhsa_float_denorm_mode_32 3
		.amdhsa_float_denorm_mode_16_64 3
		.amdhsa_dx10_clamp 1
		.amdhsa_ieee_mode 1
		.amdhsa_fp16_overflow 0
		.amdhsa_exception_fp_ieee_invalid_op 0
		.amdhsa_exception_fp_denorm_src 0
		.amdhsa_exception_fp_ieee_div_zero 0
		.amdhsa_exception_fp_ieee_overflow 0
		.amdhsa_exception_fp_ieee_underflow 0
		.amdhsa_exception_fp_ieee_inexact 0
		.amdhsa_exception_int_div_zero 0
	.end_amdhsa_kernel
	.section	.text._Z28segmented_warp_reduce_kernelIihLj37ELj100EENSt9enable_ifIXsr15benchmark_utilsE35device_test_enabled_for_warp_size_vIXT1_EEEvE4typeEPKT_PT0_PS3_,"axG",@progbits,_Z28segmented_warp_reduce_kernelIihLj37ELj100EENSt9enable_ifIXsr15benchmark_utilsE35device_test_enabled_for_warp_size_vIXT1_EEEvE4typeEPKT_PT0_PS3_,comdat
.Lfunc_end39:
	.size	_Z28segmented_warp_reduce_kernelIihLj37ELj100EENSt9enable_ifIXsr15benchmark_utilsE35device_test_enabled_for_warp_size_vIXT1_EEEvE4typeEPKT_PT0_PS3_, .Lfunc_end39-_Z28segmented_warp_reduce_kernelIihLj37ELj100EENSt9enable_ifIXsr15benchmark_utilsE35device_test_enabled_for_warp_size_vIXT1_EEEvE4typeEPKT_PT0_PS3_
                                        ; -- End function
	.set _Z28segmented_warp_reduce_kernelIihLj37ELj100EENSt9enable_ifIXsr15benchmark_utilsE35device_test_enabled_for_warp_size_vIXT1_EEEvE4typeEPKT_PT0_PS3_.num_vgpr, 16
	.set _Z28segmented_warp_reduce_kernelIihLj37ELj100EENSt9enable_ifIXsr15benchmark_utilsE35device_test_enabled_for_warp_size_vIXT1_EEEvE4typeEPKT_PT0_PS3_.num_agpr, 0
	.set _Z28segmented_warp_reduce_kernelIihLj37ELj100EENSt9enable_ifIXsr15benchmark_utilsE35device_test_enabled_for_warp_size_vIXT1_EEEvE4typeEPKT_PT0_PS3_.numbered_sgpr, 12
	.set _Z28segmented_warp_reduce_kernelIihLj37ELj100EENSt9enable_ifIXsr15benchmark_utilsE35device_test_enabled_for_warp_size_vIXT1_EEEvE4typeEPKT_PT0_PS3_.num_named_barrier, 0
	.set _Z28segmented_warp_reduce_kernelIihLj37ELj100EENSt9enable_ifIXsr15benchmark_utilsE35device_test_enabled_for_warp_size_vIXT1_EEEvE4typeEPKT_PT0_PS3_.private_seg_size, 0
	.set _Z28segmented_warp_reduce_kernelIihLj37ELj100EENSt9enable_ifIXsr15benchmark_utilsE35device_test_enabled_for_warp_size_vIXT1_EEEvE4typeEPKT_PT0_PS3_.uses_vcc, 1
	.set _Z28segmented_warp_reduce_kernelIihLj37ELj100EENSt9enable_ifIXsr15benchmark_utilsE35device_test_enabled_for_warp_size_vIXT1_EEEvE4typeEPKT_PT0_PS3_.uses_flat_scratch, 0
	.set _Z28segmented_warp_reduce_kernelIihLj37ELj100EENSt9enable_ifIXsr15benchmark_utilsE35device_test_enabled_for_warp_size_vIXT1_EEEvE4typeEPKT_PT0_PS3_.has_dyn_sized_stack, 0
	.set _Z28segmented_warp_reduce_kernelIihLj37ELj100EENSt9enable_ifIXsr15benchmark_utilsE35device_test_enabled_for_warp_size_vIXT1_EEEvE4typeEPKT_PT0_PS3_.has_recursion, 0
	.set _Z28segmented_warp_reduce_kernelIihLj37ELj100EENSt9enable_ifIXsr15benchmark_utilsE35device_test_enabled_for_warp_size_vIXT1_EEEvE4typeEPKT_PT0_PS3_.has_indirect_call, 0
	.section	.AMDGPU.csdata,"",@progbits
; Kernel info:
; codeLenInByte = 508
; TotalNumSgprs: 16
; NumVgprs: 16
; ScratchSize: 0
; MemoryBound: 0
; FloatMode: 240
; IeeeMode: 1
; LDSByteSize: 148 bytes/workgroup (compile time only)
; SGPRBlocks: 1
; VGPRBlocks: 3
; NumSGPRsForWavesPerEU: 16
; NumVGPRsForWavesPerEU: 16
; Occupancy: 10
; WaveLimiterHint : 0
; COMPUTE_PGM_RSRC2:SCRATCH_EN: 0
; COMPUTE_PGM_RSRC2:USER_SGPR: 6
; COMPUTE_PGM_RSRC2:TRAP_HANDLER: 0
; COMPUTE_PGM_RSRC2:TGID_X_EN: 1
; COMPUTE_PGM_RSRC2:TGID_Y_EN: 0
; COMPUTE_PGM_RSRC2:TGID_Z_EN: 0
; COMPUTE_PGM_RSRC2:TIDIG_COMP_CNT: 0
	.section	.text._Z28segmented_warp_reduce_kernelIihLj61ELj100EENSt9enable_ifIXsr15benchmark_utilsE35device_test_enabled_for_warp_size_vIXT1_EEEvE4typeEPKT_PT0_PS3_,"axG",@progbits,_Z28segmented_warp_reduce_kernelIihLj61ELj100EENSt9enable_ifIXsr15benchmark_utilsE35device_test_enabled_for_warp_size_vIXT1_EEEvE4typeEPKT_PT0_PS3_,comdat
	.protected	_Z28segmented_warp_reduce_kernelIihLj61ELj100EENSt9enable_ifIXsr15benchmark_utilsE35device_test_enabled_for_warp_size_vIXT1_EEEvE4typeEPKT_PT0_PS3_ ; -- Begin function _Z28segmented_warp_reduce_kernelIihLj61ELj100EENSt9enable_ifIXsr15benchmark_utilsE35device_test_enabled_for_warp_size_vIXT1_EEEvE4typeEPKT_PT0_PS3_
	.globl	_Z28segmented_warp_reduce_kernelIihLj61ELj100EENSt9enable_ifIXsr15benchmark_utilsE35device_test_enabled_for_warp_size_vIXT1_EEEvE4typeEPKT_PT0_PS3_
	.p2align	8
	.type	_Z28segmented_warp_reduce_kernelIihLj61ELj100EENSt9enable_ifIXsr15benchmark_utilsE35device_test_enabled_for_warp_size_vIXT1_EEEvE4typeEPKT_PT0_PS3_,@function
_Z28segmented_warp_reduce_kernelIihLj61ELj100EENSt9enable_ifIXsr15benchmark_utilsE35device_test_enabled_for_warp_size_vIXT1_EEEvE4typeEPKT_PT0_PS3_: ; @_Z28segmented_warp_reduce_kernelIihLj61ELj100EENSt9enable_ifIXsr15benchmark_utilsE35device_test_enabled_for_warp_size_vIXT1_EEEvE4typeEPKT_PT0_PS3_
; %bb.0:
	s_load_dword s2, s[4:5], 0x24
	s_load_dwordx4 s[8:11], s[4:5], 0x0
	s_load_dwordx2 s[0:1], s[4:5], 0x10
	v_mov_b32_e32 v3, 0
	s_movk_i32 s4, 0x64
	s_waitcnt lgkmcnt(0)
	s_and_b32 s2, s2, 0xffff
	s_mul_i32 s6, s6, s2
	v_add_u32_e32 v2, s6, v0
	v_lshlrev_b64 v[0:1], 2, v[2:3]
	v_mov_b32_e32 v3, s9
	global_load_ubyte v13, v2, s[10:11]
	v_add_co_u32_e32 v2, vcc, s8, v0
	v_addc_co_u32_e32 v3, vcc, v3, v1, vcc
	global_load_dword v4, v[2:3], off
	v_mbcnt_lo_u32_b32 v2, -1, 0
	v_mbcnt_hi_u32_b32 v2, -1, v2
	s_mov_b32 s2, 0x4325c54
	v_mul_hi_u32 v3, v2, s2
	v_mul_u32_u24_e32 v5, 61, v3
	v_sub_u32_e32 v6, v2, v5
	v_lshlrev_b64 v[2:3], v2, -1
	v_lshlrev_b32_e32 v7, 2, v6
	v_add_u32_e32 v8, 2, v6
	v_add_u32_e32 v9, 4, v6
	;; [unrolled: 1-line block ×5, first 2 shown]
	s_waitcnt vmcnt(1)
	v_cmp_ne_u16_e32 vcc, 0, v13
	v_cndmask_b32_e64 v13, 0, 1, vcc
	s_branch .LBB40_2
.LBB40_1:                               ;   in Loop: Header=BB40_2 Depth=1
	s_or_b64 exec, exec, s[2:3]
	s_add_i32 s4, s4, -1
	s_cmp_eq_u32 s4, 0
	; wave barrier
	s_cbranch_scc1 .LBB40_14
.LBB40_2:                               ; =>This Inner Loop Header: Depth=1
	v_cmp_ne_u32_e32 vcc, 0, v13
	s_lshr_b64 s[2:3], vcc, 1
	v_and_b32_e32 v15, s3, v3
	v_and_b32_e32 v14, s2, v2
	v_lshrrev_b64 v[14:15], v5, v[14:15]
	s_waitcnt vmcnt(0)
	ds_write_b32 v7, v4
	v_or_b32_e32 v15, 0x10000000, v15
	v_ffbl_b32_e32 v15, v15
	v_add_u32_e32 v15, 32, v15
	v_ffbl_b32_e32 v14, v14
	v_min_u32_e32 v14, v14, v15
	v_cmp_lt_u32_e32 vcc, v6, v14
	; wave barrier
	s_and_saveexec_b64 s[2:3], vcc
	s_cbranch_execz .LBB40_4
; %bb.3:                                ;   in Loop: Header=BB40_2 Depth=1
	ds_read_b32 v15, v7 offset:4
	s_waitcnt lgkmcnt(0)
	v_add_u32_e32 v4, v15, v4
.LBB40_4:                               ;   in Loop: Header=BB40_2 Depth=1
	s_or_b64 exec, exec, s[2:3]
	v_cmp_le_u32_e32 vcc, v8, v14
	; wave barrier
	ds_write_b32 v7, v4
	; wave barrier
	s_and_saveexec_b64 s[2:3], vcc
	s_cbranch_execz .LBB40_6
; %bb.5:                                ;   in Loop: Header=BB40_2 Depth=1
	ds_read_b32 v15, v7 offset:8
	s_waitcnt lgkmcnt(0)
	v_add_u32_e32 v4, v15, v4
.LBB40_6:                               ;   in Loop: Header=BB40_2 Depth=1
	s_or_b64 exec, exec, s[2:3]
	v_cmp_le_u32_e32 vcc, v9, v14
	; wave barrier
	ds_write_b32 v7, v4
	;; [unrolled: 12-line block ×3, first 2 shown]
	; wave barrier
	s_and_saveexec_b64 s[2:3], vcc
	s_cbranch_execz .LBB40_10
; %bb.9:                                ;   in Loop: Header=BB40_2 Depth=1
	ds_read_b32 v15, v7 offset:32
	s_waitcnt lgkmcnt(0)
	v_add_u32_e32 v4, v15, v4
.LBB40_10:                              ;   in Loop: Header=BB40_2 Depth=1
	s_or_b64 exec, exec, s[2:3]
	v_cmp_le_u32_e32 vcc, v11, v14
	; wave barrier
	ds_write_b32 v7, v4
	; wave barrier
	s_and_saveexec_b64 s[2:3], vcc
	s_cbranch_execz .LBB40_12
; %bb.11:                               ;   in Loop: Header=BB40_2 Depth=1
	ds_read_b32 v15, v7 offset:64
	s_waitcnt lgkmcnt(0)
	v_add_u32_e32 v4, v15, v4
.LBB40_12:                              ;   in Loop: Header=BB40_2 Depth=1
	s_or_b64 exec, exec, s[2:3]
	v_cmp_le_u32_e32 vcc, v12, v14
	; wave barrier
	ds_write_b32 v7, v4
	; wave barrier
	s_and_saveexec_b64 s[2:3], vcc
	s_cbranch_execz .LBB40_1
; %bb.13:                               ;   in Loop: Header=BB40_2 Depth=1
	ds_read_b32 v14, v7 offset:128
	s_waitcnt lgkmcnt(0)
	v_add_u32_e32 v4, v14, v4
	s_branch .LBB40_1
.LBB40_14:
	v_mov_b32_e32 v2, s1
	v_add_co_u32_e32 v0, vcc, s0, v0
	v_addc_co_u32_e32 v1, vcc, v2, v1, vcc
	global_store_dword v[0:1], v4, off
	s_endpgm
	.section	.rodata,"a",@progbits
	.p2align	6, 0x0
	.amdhsa_kernel _Z28segmented_warp_reduce_kernelIihLj61ELj100EENSt9enable_ifIXsr15benchmark_utilsE35device_test_enabled_for_warp_size_vIXT1_EEEvE4typeEPKT_PT0_PS3_
		.amdhsa_group_segment_fixed_size 244
		.amdhsa_private_segment_fixed_size 0
		.amdhsa_kernarg_size 280
		.amdhsa_user_sgpr_count 6
		.amdhsa_user_sgpr_private_segment_buffer 1
		.amdhsa_user_sgpr_dispatch_ptr 0
		.amdhsa_user_sgpr_queue_ptr 0
		.amdhsa_user_sgpr_kernarg_segment_ptr 1
		.amdhsa_user_sgpr_dispatch_id 0
		.amdhsa_user_sgpr_flat_scratch_init 0
		.amdhsa_user_sgpr_private_segment_size 0
		.amdhsa_uses_dynamic_stack 0
		.amdhsa_system_sgpr_private_segment_wavefront_offset 0
		.amdhsa_system_sgpr_workgroup_id_x 1
		.amdhsa_system_sgpr_workgroup_id_y 0
		.amdhsa_system_sgpr_workgroup_id_z 0
		.amdhsa_system_sgpr_workgroup_info 0
		.amdhsa_system_vgpr_workitem_id 0
		.amdhsa_next_free_vgpr 16
		.amdhsa_next_free_sgpr 12
		.amdhsa_reserve_vcc 1
		.amdhsa_reserve_flat_scratch 0
		.amdhsa_float_round_mode_32 0
		.amdhsa_float_round_mode_16_64 0
		.amdhsa_float_denorm_mode_32 3
		.amdhsa_float_denorm_mode_16_64 3
		.amdhsa_dx10_clamp 1
		.amdhsa_ieee_mode 1
		.amdhsa_fp16_overflow 0
		.amdhsa_exception_fp_ieee_invalid_op 0
		.amdhsa_exception_fp_denorm_src 0
		.amdhsa_exception_fp_ieee_div_zero 0
		.amdhsa_exception_fp_ieee_overflow 0
		.amdhsa_exception_fp_ieee_underflow 0
		.amdhsa_exception_fp_ieee_inexact 0
		.amdhsa_exception_int_div_zero 0
	.end_amdhsa_kernel
	.section	.text._Z28segmented_warp_reduce_kernelIihLj61ELj100EENSt9enable_ifIXsr15benchmark_utilsE35device_test_enabled_for_warp_size_vIXT1_EEEvE4typeEPKT_PT0_PS3_,"axG",@progbits,_Z28segmented_warp_reduce_kernelIihLj61ELj100EENSt9enable_ifIXsr15benchmark_utilsE35device_test_enabled_for_warp_size_vIXT1_EEEvE4typeEPKT_PT0_PS3_,comdat
.Lfunc_end40:
	.size	_Z28segmented_warp_reduce_kernelIihLj61ELj100EENSt9enable_ifIXsr15benchmark_utilsE35device_test_enabled_for_warp_size_vIXT1_EEEvE4typeEPKT_PT0_PS3_, .Lfunc_end40-_Z28segmented_warp_reduce_kernelIihLj61ELj100EENSt9enable_ifIXsr15benchmark_utilsE35device_test_enabled_for_warp_size_vIXT1_EEEvE4typeEPKT_PT0_PS3_
                                        ; -- End function
	.set _Z28segmented_warp_reduce_kernelIihLj61ELj100EENSt9enable_ifIXsr15benchmark_utilsE35device_test_enabled_for_warp_size_vIXT1_EEEvE4typeEPKT_PT0_PS3_.num_vgpr, 16
	.set _Z28segmented_warp_reduce_kernelIihLj61ELj100EENSt9enable_ifIXsr15benchmark_utilsE35device_test_enabled_for_warp_size_vIXT1_EEEvE4typeEPKT_PT0_PS3_.num_agpr, 0
	.set _Z28segmented_warp_reduce_kernelIihLj61ELj100EENSt9enable_ifIXsr15benchmark_utilsE35device_test_enabled_for_warp_size_vIXT1_EEEvE4typeEPKT_PT0_PS3_.numbered_sgpr, 12
	.set _Z28segmented_warp_reduce_kernelIihLj61ELj100EENSt9enable_ifIXsr15benchmark_utilsE35device_test_enabled_for_warp_size_vIXT1_EEEvE4typeEPKT_PT0_PS3_.num_named_barrier, 0
	.set _Z28segmented_warp_reduce_kernelIihLj61ELj100EENSt9enable_ifIXsr15benchmark_utilsE35device_test_enabled_for_warp_size_vIXT1_EEEvE4typeEPKT_PT0_PS3_.private_seg_size, 0
	.set _Z28segmented_warp_reduce_kernelIihLj61ELj100EENSt9enable_ifIXsr15benchmark_utilsE35device_test_enabled_for_warp_size_vIXT1_EEEvE4typeEPKT_PT0_PS3_.uses_vcc, 1
	.set _Z28segmented_warp_reduce_kernelIihLj61ELj100EENSt9enable_ifIXsr15benchmark_utilsE35device_test_enabled_for_warp_size_vIXT1_EEEvE4typeEPKT_PT0_PS3_.uses_flat_scratch, 0
	.set _Z28segmented_warp_reduce_kernelIihLj61ELj100EENSt9enable_ifIXsr15benchmark_utilsE35device_test_enabled_for_warp_size_vIXT1_EEEvE4typeEPKT_PT0_PS3_.has_dyn_sized_stack, 0
	.set _Z28segmented_warp_reduce_kernelIihLj61ELj100EENSt9enable_ifIXsr15benchmark_utilsE35device_test_enabled_for_warp_size_vIXT1_EEEvE4typeEPKT_PT0_PS3_.has_recursion, 0
	.set _Z28segmented_warp_reduce_kernelIihLj61ELj100EENSt9enable_ifIXsr15benchmark_utilsE35device_test_enabled_for_warp_size_vIXT1_EEEvE4typeEPKT_PT0_PS3_.has_indirect_call, 0
	.section	.AMDGPU.csdata,"",@progbits
; Kernel info:
; codeLenInByte = 512
; TotalNumSgprs: 16
; NumVgprs: 16
; ScratchSize: 0
; MemoryBound: 0
; FloatMode: 240
; IeeeMode: 1
; LDSByteSize: 244 bytes/workgroup (compile time only)
; SGPRBlocks: 1
; VGPRBlocks: 3
; NumSGPRsForWavesPerEU: 16
; NumVGPRsForWavesPerEU: 16
; Occupancy: 10
; WaveLimiterHint : 0
; COMPUTE_PGM_RSRC2:SCRATCH_EN: 0
; COMPUTE_PGM_RSRC2:USER_SGPR: 6
; COMPUTE_PGM_RSRC2:TRAP_HANDLER: 0
; COMPUTE_PGM_RSRC2:TGID_X_EN: 1
; COMPUTE_PGM_RSRC2:TGID_Y_EN: 0
; COMPUTE_PGM_RSRC2:TGID_Z_EN: 0
; COMPUTE_PGM_RSRC2:TIDIG_COMP_CNT: 0
	.section	.text._Z28segmented_warp_reduce_kernelIihLj64ELj100EENSt9enable_ifIXsr15benchmark_utilsE35device_test_enabled_for_warp_size_vIXT1_EEEvE4typeEPKT_PT0_PS3_,"axG",@progbits,_Z28segmented_warp_reduce_kernelIihLj64ELj100EENSt9enable_ifIXsr15benchmark_utilsE35device_test_enabled_for_warp_size_vIXT1_EEEvE4typeEPKT_PT0_PS3_,comdat
	.protected	_Z28segmented_warp_reduce_kernelIihLj64ELj100EENSt9enable_ifIXsr15benchmark_utilsE35device_test_enabled_for_warp_size_vIXT1_EEEvE4typeEPKT_PT0_PS3_ ; -- Begin function _Z28segmented_warp_reduce_kernelIihLj64ELj100EENSt9enable_ifIXsr15benchmark_utilsE35device_test_enabled_for_warp_size_vIXT1_EEEvE4typeEPKT_PT0_PS3_
	.globl	_Z28segmented_warp_reduce_kernelIihLj64ELj100EENSt9enable_ifIXsr15benchmark_utilsE35device_test_enabled_for_warp_size_vIXT1_EEEvE4typeEPKT_PT0_PS3_
	.p2align	8
	.type	_Z28segmented_warp_reduce_kernelIihLj64ELj100EENSt9enable_ifIXsr15benchmark_utilsE35device_test_enabled_for_warp_size_vIXT1_EEEvE4typeEPKT_PT0_PS3_,@function
_Z28segmented_warp_reduce_kernelIihLj64ELj100EENSt9enable_ifIXsr15benchmark_utilsE35device_test_enabled_for_warp_size_vIXT1_EEEvE4typeEPKT_PT0_PS3_: ; @_Z28segmented_warp_reduce_kernelIihLj64ELj100EENSt9enable_ifIXsr15benchmark_utilsE35device_test_enabled_for_warp_size_vIXT1_EEEvE4typeEPKT_PT0_PS3_
; %bb.0:
	s_load_dword s0, s[4:5], 0x24
	s_load_dwordx4 s[8:11], s[4:5], 0x0
	s_load_dwordx2 s[2:3], s[4:5], 0x10
	v_mov_b32_e32 v3, 0
	v_mov_b32_e32 v16, 0x80
	s_waitcnt lgkmcnt(0)
	s_and_b32 s0, s0, 0xffff
	s_mul_i32 s6, s6, s0
	v_add_u32_e32 v2, s6, v0
	v_lshlrev_b64 v[0:1], 2, v[2:3]
	v_mov_b32_e32 v3, s9
	global_load_ubyte v15, v2, s[10:11]
	v_add_co_u32_e32 v2, vcc, s8, v0
	v_addc_co_u32_e32 v3, vcc, v3, v1, vcc
	global_load_dword v4, v[2:3], off
	v_mbcnt_lo_u32_b32 v2, -1, 0
	v_mbcnt_hi_u32_b32 v17, -1, v2
	v_and_b32_e32 v10, 63, v17
	v_cmp_ne_u32_e32 vcc, 63, v10
	v_addc_co_u32_e32 v11, vcc, 0, v17, vcc
	v_cmp_gt_u32_e32 vcc, 62, v10
	v_cndmask_b32_e64 v12, 0, 2, vcc
	v_cmp_gt_u32_e32 vcc, 60, v10
	v_cndmask_b32_e64 v13, 0, 4, vcc
	;; [unrolled: 2-line block ×3, first 2 shown]
	v_cmp_gt_u32_e32 vcc, 48, v10
	v_lshlrev_b64 v[2:3], v17, -1
	v_cndmask_b32_e64 v18, 0, 16, vcc
	v_add_u32_e32 v5, 1, v17
	v_add_u32_e32 v6, 2, v17
	;; [unrolled: 1-line block ×5, first 2 shown]
	v_lshlrev_b32_e32 v10, 2, v11
	v_add_lshl_u32 v11, v12, v17, 2
	v_add_lshl_u32 v12, v13, v17, 2
	;; [unrolled: 1-line block ×4, first 2 shown]
	s_movk_i32 s4, 0x64
	s_waitcnt vmcnt(1)
	v_cmp_ne_u16_e32 vcc, 0, v15
	v_lshl_or_b32 v15, v17, 2, v16
	v_add_u32_e32 v16, 32, v17
.LBB41_1:                               ; =>This Inner Loop Header: Depth=1
	v_cndmask_b32_e64 v17, 0, 1, vcc
	v_cmp_ne_u32_e64 s[0:1], 0, v17
	s_lshr_b64 s[0:1], s[0:1], 1
	v_and_b32_e32 v17, s1, v3
	s_waitcnt vmcnt(0)
	ds_bpermute_b32 v18, v10, v4
	v_or_b32_e32 v17, 0x80000000, v17
	v_and_b32_e32 v19, s0, v2
	v_ffbl_b32_e32 v17, v17
	v_ffbl_b32_e32 v19, v19
	v_add_u32_e32 v17, 32, v17
	v_min_u32_e32 v17, v19, v17
	v_cmp_le_u32_e64 s[0:1], v5, v17
	s_waitcnt lgkmcnt(0)
	v_cndmask_b32_e64 v18, 0, v18, s[0:1]
	v_add_u32_e32 v4, v18, v4
	ds_bpermute_b32 v18, v11, v4
	v_cmp_le_u32_e64 s[0:1], v6, v17
	s_add_i32 s4, s4, -1
	s_cmp_eq_u32 s4, 0
	s_waitcnt lgkmcnt(0)
	v_cndmask_b32_e64 v18, 0, v18, s[0:1]
	v_add_u32_e32 v4, v4, v18
	ds_bpermute_b32 v18, v12, v4
	v_cmp_le_u32_e64 s[0:1], v7, v17
	s_waitcnt lgkmcnt(0)
	v_cndmask_b32_e64 v18, 0, v18, s[0:1]
	v_add_u32_e32 v4, v4, v18
	ds_bpermute_b32 v18, v13, v4
	v_cmp_le_u32_e64 s[0:1], v8, v17
	;; [unrolled: 5-line block ×4, first 2 shown]
	s_waitcnt lgkmcnt(0)
	v_cndmask_b32_e64 v17, 0, v18, s[0:1]
	v_add_u32_e32 v4, v4, v17
	s_cbranch_scc0 .LBB41_1
; %bb.2:
	v_mov_b32_e32 v2, s3
	v_add_co_u32_e32 v0, vcc, s2, v0
	v_addc_co_u32_e32 v1, vcc, v2, v1, vcc
	global_store_dword v[0:1], v4, off
	s_endpgm
	.section	.rodata,"a",@progbits
	.p2align	6, 0x0
	.amdhsa_kernel _Z28segmented_warp_reduce_kernelIihLj64ELj100EENSt9enable_ifIXsr15benchmark_utilsE35device_test_enabled_for_warp_size_vIXT1_EEEvE4typeEPKT_PT0_PS3_
		.amdhsa_group_segment_fixed_size 0
		.amdhsa_private_segment_fixed_size 0
		.amdhsa_kernarg_size 280
		.amdhsa_user_sgpr_count 6
		.amdhsa_user_sgpr_private_segment_buffer 1
		.amdhsa_user_sgpr_dispatch_ptr 0
		.amdhsa_user_sgpr_queue_ptr 0
		.amdhsa_user_sgpr_kernarg_segment_ptr 1
		.amdhsa_user_sgpr_dispatch_id 0
		.amdhsa_user_sgpr_flat_scratch_init 0
		.amdhsa_user_sgpr_private_segment_size 0
		.amdhsa_uses_dynamic_stack 0
		.amdhsa_system_sgpr_private_segment_wavefront_offset 0
		.amdhsa_system_sgpr_workgroup_id_x 1
		.amdhsa_system_sgpr_workgroup_id_y 0
		.amdhsa_system_sgpr_workgroup_id_z 0
		.amdhsa_system_sgpr_workgroup_info 0
		.amdhsa_system_vgpr_workitem_id 0
		.amdhsa_next_free_vgpr 20
		.amdhsa_next_free_sgpr 12
		.amdhsa_reserve_vcc 1
		.amdhsa_reserve_flat_scratch 0
		.amdhsa_float_round_mode_32 0
		.amdhsa_float_round_mode_16_64 0
		.amdhsa_float_denorm_mode_32 3
		.amdhsa_float_denorm_mode_16_64 3
		.amdhsa_dx10_clamp 1
		.amdhsa_ieee_mode 1
		.amdhsa_fp16_overflow 0
		.amdhsa_exception_fp_ieee_invalid_op 0
		.amdhsa_exception_fp_denorm_src 0
		.amdhsa_exception_fp_ieee_div_zero 0
		.amdhsa_exception_fp_ieee_overflow 0
		.amdhsa_exception_fp_ieee_underflow 0
		.amdhsa_exception_fp_ieee_inexact 0
		.amdhsa_exception_int_div_zero 0
	.end_amdhsa_kernel
	.section	.text._Z28segmented_warp_reduce_kernelIihLj64ELj100EENSt9enable_ifIXsr15benchmark_utilsE35device_test_enabled_for_warp_size_vIXT1_EEEvE4typeEPKT_PT0_PS3_,"axG",@progbits,_Z28segmented_warp_reduce_kernelIihLj64ELj100EENSt9enable_ifIXsr15benchmark_utilsE35device_test_enabled_for_warp_size_vIXT1_EEEvE4typeEPKT_PT0_PS3_,comdat
.Lfunc_end41:
	.size	_Z28segmented_warp_reduce_kernelIihLj64ELj100EENSt9enable_ifIXsr15benchmark_utilsE35device_test_enabled_for_warp_size_vIXT1_EEEvE4typeEPKT_PT0_PS3_, .Lfunc_end41-_Z28segmented_warp_reduce_kernelIihLj64ELj100EENSt9enable_ifIXsr15benchmark_utilsE35device_test_enabled_for_warp_size_vIXT1_EEEvE4typeEPKT_PT0_PS3_
                                        ; -- End function
	.set _Z28segmented_warp_reduce_kernelIihLj64ELj100EENSt9enable_ifIXsr15benchmark_utilsE35device_test_enabled_for_warp_size_vIXT1_EEEvE4typeEPKT_PT0_PS3_.num_vgpr, 20
	.set _Z28segmented_warp_reduce_kernelIihLj64ELj100EENSt9enable_ifIXsr15benchmark_utilsE35device_test_enabled_for_warp_size_vIXT1_EEEvE4typeEPKT_PT0_PS3_.num_agpr, 0
	.set _Z28segmented_warp_reduce_kernelIihLj64ELj100EENSt9enable_ifIXsr15benchmark_utilsE35device_test_enabled_for_warp_size_vIXT1_EEEvE4typeEPKT_PT0_PS3_.numbered_sgpr, 12
	.set _Z28segmented_warp_reduce_kernelIihLj64ELj100EENSt9enable_ifIXsr15benchmark_utilsE35device_test_enabled_for_warp_size_vIXT1_EEEvE4typeEPKT_PT0_PS3_.num_named_barrier, 0
	.set _Z28segmented_warp_reduce_kernelIihLj64ELj100EENSt9enable_ifIXsr15benchmark_utilsE35device_test_enabled_for_warp_size_vIXT1_EEEvE4typeEPKT_PT0_PS3_.private_seg_size, 0
	.set _Z28segmented_warp_reduce_kernelIihLj64ELj100EENSt9enable_ifIXsr15benchmark_utilsE35device_test_enabled_for_warp_size_vIXT1_EEEvE4typeEPKT_PT0_PS3_.uses_vcc, 1
	.set _Z28segmented_warp_reduce_kernelIihLj64ELj100EENSt9enable_ifIXsr15benchmark_utilsE35device_test_enabled_for_warp_size_vIXT1_EEEvE4typeEPKT_PT0_PS3_.uses_flat_scratch, 0
	.set _Z28segmented_warp_reduce_kernelIihLj64ELj100EENSt9enable_ifIXsr15benchmark_utilsE35device_test_enabled_for_warp_size_vIXT1_EEEvE4typeEPKT_PT0_PS3_.has_dyn_sized_stack, 0
	.set _Z28segmented_warp_reduce_kernelIihLj64ELj100EENSt9enable_ifIXsr15benchmark_utilsE35device_test_enabled_for_warp_size_vIXT1_EEEvE4typeEPKT_PT0_PS3_.has_recursion, 0
	.set _Z28segmented_warp_reduce_kernelIihLj64ELj100EENSt9enable_ifIXsr15benchmark_utilsE35device_test_enabled_for_warp_size_vIXT1_EEEvE4typeEPKT_PT0_PS3_.has_indirect_call, 0
	.section	.AMDGPU.csdata,"",@progbits
; Kernel info:
; codeLenInByte = 540
; TotalNumSgprs: 16
; NumVgprs: 20
; ScratchSize: 0
; MemoryBound: 0
; FloatMode: 240
; IeeeMode: 1
; LDSByteSize: 0 bytes/workgroup (compile time only)
; SGPRBlocks: 1
; VGPRBlocks: 4
; NumSGPRsForWavesPerEU: 16
; NumVGPRsForWavesPerEU: 20
; Occupancy: 10
; WaveLimiterHint : 0
; COMPUTE_PGM_RSRC2:SCRATCH_EN: 0
; COMPUTE_PGM_RSRC2:USER_SGPR: 6
; COMPUTE_PGM_RSRC2:TRAP_HANDLER: 0
; COMPUTE_PGM_RSRC2:TGID_X_EN: 1
; COMPUTE_PGM_RSRC2:TGID_Y_EN: 0
; COMPUTE_PGM_RSRC2:TGID_Z_EN: 0
; COMPUTE_PGM_RSRC2:TIDIG_COMP_CNT: 0
	.section	.text._Z28segmented_warp_reduce_kernelIfhLj15ELj100EENSt9enable_ifIXsr15benchmark_utilsE35device_test_enabled_for_warp_size_vIXT1_EEEvE4typeEPKT_PT0_PS3_,"axG",@progbits,_Z28segmented_warp_reduce_kernelIfhLj15ELj100EENSt9enable_ifIXsr15benchmark_utilsE35device_test_enabled_for_warp_size_vIXT1_EEEvE4typeEPKT_PT0_PS3_,comdat
	.protected	_Z28segmented_warp_reduce_kernelIfhLj15ELj100EENSt9enable_ifIXsr15benchmark_utilsE35device_test_enabled_for_warp_size_vIXT1_EEEvE4typeEPKT_PT0_PS3_ ; -- Begin function _Z28segmented_warp_reduce_kernelIfhLj15ELj100EENSt9enable_ifIXsr15benchmark_utilsE35device_test_enabled_for_warp_size_vIXT1_EEEvE4typeEPKT_PT0_PS3_
	.globl	_Z28segmented_warp_reduce_kernelIfhLj15ELj100EENSt9enable_ifIXsr15benchmark_utilsE35device_test_enabled_for_warp_size_vIXT1_EEEvE4typeEPKT_PT0_PS3_
	.p2align	8
	.type	_Z28segmented_warp_reduce_kernelIfhLj15ELj100EENSt9enable_ifIXsr15benchmark_utilsE35device_test_enabled_for_warp_size_vIXT1_EEEvE4typeEPKT_PT0_PS3_,@function
_Z28segmented_warp_reduce_kernelIfhLj15ELj100EENSt9enable_ifIXsr15benchmark_utilsE35device_test_enabled_for_warp_size_vIXT1_EEEvE4typeEPKT_PT0_PS3_: ; @_Z28segmented_warp_reduce_kernelIfhLj15ELj100EENSt9enable_ifIXsr15benchmark_utilsE35device_test_enabled_for_warp_size_vIXT1_EEEvE4typeEPKT_PT0_PS3_
; %bb.0:
	s_load_dword s2, s[4:5], 0x24
	s_load_dwordx4 s[8:11], s[4:5], 0x0
	s_load_dwordx2 s[0:1], s[4:5], 0x10
	v_mov_b32_e32 v3, 0
	s_movk_i32 s4, 0x64
	s_waitcnt lgkmcnt(0)
	s_and_b32 s2, s2, 0xffff
	s_mul_i32 s6, s6, s2
	v_add_u32_e32 v2, s6, v0
	v_lshlrev_b64 v[0:1], 2, v[2:3]
	v_mov_b32_e32 v3, s9
	global_load_ubyte v11, v2, s[10:11]
	v_add_co_u32_e32 v2, vcc, s8, v0
	v_addc_co_u32_e32 v3, vcc, v3, v1, vcc
	global_load_dword v4, v[2:3], off
	v_mbcnt_lo_u32_b32 v2, -1, 0
	v_mbcnt_hi_u32_b32 v2, -1, v2
	s_mov_b32 s2, 0x11111112
	v_mul_hi_u32 v3, v2, s2
	v_mul_u32_u24_e32 v5, 15, v3
	v_sub_u32_e32 v6, v2, v5
	v_lshlrev_b64 v[2:3], v2, -1
	v_lshlrev_b32_e32 v7, 2, v6
	v_add_u32_e32 v8, 2, v6
	v_add_u32_e32 v9, 4, v6
	;; [unrolled: 1-line block ×3, first 2 shown]
	s_waitcnt vmcnt(1)
	v_cmp_ne_u16_e32 vcc, 0, v11
	v_cndmask_b32_e64 v11, 0, 1, vcc
	s_branch .LBB42_2
.LBB42_1:                               ;   in Loop: Header=BB42_2 Depth=1
	s_or_b64 exec, exec, s[2:3]
	s_add_i32 s4, s4, -1
	s_cmp_eq_u32 s4, 0
	; wave barrier
	s_cbranch_scc1 .LBB42_10
.LBB42_2:                               ; =>This Inner Loop Header: Depth=1
	v_cmp_ne_u32_e32 vcc, 0, v11
	s_lshr_b64 s[2:3], vcc, 1
	v_and_b32_e32 v13, s3, v3
	v_and_b32_e32 v12, s2, v2
	v_lshrrev_b64 v[12:13], v5, v[12:13]
	s_waitcnt vmcnt(0)
	ds_write_b32 v7, v4
	v_or_b32_e32 v12, 0x4000, v12
	v_ffbl_b32_e32 v13, v13
	v_add_u32_e32 v13, 32, v13
	v_ffbl_b32_e32 v12, v12
	v_min_u32_e32 v12, v12, v13
	v_cmp_lt_u32_e32 vcc, v6, v12
	; wave barrier
	s_and_saveexec_b64 s[2:3], vcc
	s_cbranch_execz .LBB42_4
; %bb.3:                                ;   in Loop: Header=BB42_2 Depth=1
	ds_read_b32 v13, v7 offset:4
	s_waitcnt lgkmcnt(0)
	v_add_f32_e32 v4, v4, v13
.LBB42_4:                               ;   in Loop: Header=BB42_2 Depth=1
	s_or_b64 exec, exec, s[2:3]
	v_cmp_le_u32_e32 vcc, v8, v12
	; wave barrier
	ds_write_b32 v7, v4
	; wave barrier
	s_and_saveexec_b64 s[2:3], vcc
	s_cbranch_execz .LBB42_6
; %bb.5:                                ;   in Loop: Header=BB42_2 Depth=1
	ds_read_b32 v13, v7 offset:8
	s_waitcnt lgkmcnt(0)
	v_add_f32_e32 v4, v4, v13
.LBB42_6:                               ;   in Loop: Header=BB42_2 Depth=1
	s_or_b64 exec, exec, s[2:3]
	v_cmp_le_u32_e32 vcc, v9, v12
	; wave barrier
	ds_write_b32 v7, v4
	;; [unrolled: 12-line block ×3, first 2 shown]
	; wave barrier
	s_and_saveexec_b64 s[2:3], vcc
	s_cbranch_execz .LBB42_1
; %bb.9:                                ;   in Loop: Header=BB42_2 Depth=1
	ds_read_b32 v12, v7 offset:32
	s_waitcnt lgkmcnt(0)
	v_add_f32_e32 v4, v4, v12
	s_branch .LBB42_1
.LBB42_10:
	v_mov_b32_e32 v2, s1
	v_add_co_u32_e32 v0, vcc, s0, v0
	v_addc_co_u32_e32 v1, vcc, v2, v1, vcc
	global_store_dword v[0:1], v4, off
	s_endpgm
	.section	.rodata,"a",@progbits
	.p2align	6, 0x0
	.amdhsa_kernel _Z28segmented_warp_reduce_kernelIfhLj15ELj100EENSt9enable_ifIXsr15benchmark_utilsE35device_test_enabled_for_warp_size_vIXT1_EEEvE4typeEPKT_PT0_PS3_
		.amdhsa_group_segment_fixed_size 60
		.amdhsa_private_segment_fixed_size 0
		.amdhsa_kernarg_size 280
		.amdhsa_user_sgpr_count 6
		.amdhsa_user_sgpr_private_segment_buffer 1
		.amdhsa_user_sgpr_dispatch_ptr 0
		.amdhsa_user_sgpr_queue_ptr 0
		.amdhsa_user_sgpr_kernarg_segment_ptr 1
		.amdhsa_user_sgpr_dispatch_id 0
		.amdhsa_user_sgpr_flat_scratch_init 0
		.amdhsa_user_sgpr_private_segment_size 0
		.amdhsa_uses_dynamic_stack 0
		.amdhsa_system_sgpr_private_segment_wavefront_offset 0
		.amdhsa_system_sgpr_workgroup_id_x 1
		.amdhsa_system_sgpr_workgroup_id_y 0
		.amdhsa_system_sgpr_workgroup_id_z 0
		.amdhsa_system_sgpr_workgroup_info 0
		.amdhsa_system_vgpr_workitem_id 0
		.amdhsa_next_free_vgpr 14
		.amdhsa_next_free_sgpr 12
		.amdhsa_reserve_vcc 1
		.amdhsa_reserve_flat_scratch 0
		.amdhsa_float_round_mode_32 0
		.amdhsa_float_round_mode_16_64 0
		.amdhsa_float_denorm_mode_32 3
		.amdhsa_float_denorm_mode_16_64 3
		.amdhsa_dx10_clamp 1
		.amdhsa_ieee_mode 1
		.amdhsa_fp16_overflow 0
		.amdhsa_exception_fp_ieee_invalid_op 0
		.amdhsa_exception_fp_denorm_src 0
		.amdhsa_exception_fp_ieee_div_zero 0
		.amdhsa_exception_fp_ieee_overflow 0
		.amdhsa_exception_fp_ieee_underflow 0
		.amdhsa_exception_fp_ieee_inexact 0
		.amdhsa_exception_int_div_zero 0
	.end_amdhsa_kernel
	.section	.text._Z28segmented_warp_reduce_kernelIfhLj15ELj100EENSt9enable_ifIXsr15benchmark_utilsE35device_test_enabled_for_warp_size_vIXT1_EEEvE4typeEPKT_PT0_PS3_,"axG",@progbits,_Z28segmented_warp_reduce_kernelIfhLj15ELj100EENSt9enable_ifIXsr15benchmark_utilsE35device_test_enabled_for_warp_size_vIXT1_EEEvE4typeEPKT_PT0_PS3_,comdat
.Lfunc_end42:
	.size	_Z28segmented_warp_reduce_kernelIfhLj15ELj100EENSt9enable_ifIXsr15benchmark_utilsE35device_test_enabled_for_warp_size_vIXT1_EEEvE4typeEPKT_PT0_PS3_, .Lfunc_end42-_Z28segmented_warp_reduce_kernelIfhLj15ELj100EENSt9enable_ifIXsr15benchmark_utilsE35device_test_enabled_for_warp_size_vIXT1_EEEvE4typeEPKT_PT0_PS3_
                                        ; -- End function
	.set _Z28segmented_warp_reduce_kernelIfhLj15ELj100EENSt9enable_ifIXsr15benchmark_utilsE35device_test_enabled_for_warp_size_vIXT1_EEEvE4typeEPKT_PT0_PS3_.num_vgpr, 14
	.set _Z28segmented_warp_reduce_kernelIfhLj15ELj100EENSt9enable_ifIXsr15benchmark_utilsE35device_test_enabled_for_warp_size_vIXT1_EEEvE4typeEPKT_PT0_PS3_.num_agpr, 0
	.set _Z28segmented_warp_reduce_kernelIfhLj15ELj100EENSt9enable_ifIXsr15benchmark_utilsE35device_test_enabled_for_warp_size_vIXT1_EEEvE4typeEPKT_PT0_PS3_.numbered_sgpr, 12
	.set _Z28segmented_warp_reduce_kernelIfhLj15ELj100EENSt9enable_ifIXsr15benchmark_utilsE35device_test_enabled_for_warp_size_vIXT1_EEEvE4typeEPKT_PT0_PS3_.num_named_barrier, 0
	.set _Z28segmented_warp_reduce_kernelIfhLj15ELj100EENSt9enable_ifIXsr15benchmark_utilsE35device_test_enabled_for_warp_size_vIXT1_EEEvE4typeEPKT_PT0_PS3_.private_seg_size, 0
	.set _Z28segmented_warp_reduce_kernelIfhLj15ELj100EENSt9enable_ifIXsr15benchmark_utilsE35device_test_enabled_for_warp_size_vIXT1_EEEvE4typeEPKT_PT0_PS3_.uses_vcc, 1
	.set _Z28segmented_warp_reduce_kernelIfhLj15ELj100EENSt9enable_ifIXsr15benchmark_utilsE35device_test_enabled_for_warp_size_vIXT1_EEEvE4typeEPKT_PT0_PS3_.uses_flat_scratch, 0
	.set _Z28segmented_warp_reduce_kernelIfhLj15ELj100EENSt9enable_ifIXsr15benchmark_utilsE35device_test_enabled_for_warp_size_vIXT1_EEEvE4typeEPKT_PT0_PS3_.has_dyn_sized_stack, 0
	.set _Z28segmented_warp_reduce_kernelIfhLj15ELj100EENSt9enable_ifIXsr15benchmark_utilsE35device_test_enabled_for_warp_size_vIXT1_EEEvE4typeEPKT_PT0_PS3_.has_recursion, 0
	.set _Z28segmented_warp_reduce_kernelIfhLj15ELj100EENSt9enable_ifIXsr15benchmark_utilsE35device_test_enabled_for_warp_size_vIXT1_EEEvE4typeEPKT_PT0_PS3_.has_indirect_call, 0
	.section	.AMDGPU.csdata,"",@progbits
; Kernel info:
; codeLenInByte = 424
; TotalNumSgprs: 16
; NumVgprs: 14
; ScratchSize: 0
; MemoryBound: 0
; FloatMode: 240
; IeeeMode: 1
; LDSByteSize: 60 bytes/workgroup (compile time only)
; SGPRBlocks: 1
; VGPRBlocks: 3
; NumSGPRsForWavesPerEU: 16
; NumVGPRsForWavesPerEU: 14
; Occupancy: 10
; WaveLimiterHint : 0
; COMPUTE_PGM_RSRC2:SCRATCH_EN: 0
; COMPUTE_PGM_RSRC2:USER_SGPR: 6
; COMPUTE_PGM_RSRC2:TRAP_HANDLER: 0
; COMPUTE_PGM_RSRC2:TGID_X_EN: 1
; COMPUTE_PGM_RSRC2:TGID_Y_EN: 0
; COMPUTE_PGM_RSRC2:TGID_Z_EN: 0
; COMPUTE_PGM_RSRC2:TIDIG_COMP_CNT: 0
	.section	.text._Z28segmented_warp_reduce_kernelIfhLj16ELj100EENSt9enable_ifIXsr15benchmark_utilsE35device_test_enabled_for_warp_size_vIXT1_EEEvE4typeEPKT_PT0_PS3_,"axG",@progbits,_Z28segmented_warp_reduce_kernelIfhLj16ELj100EENSt9enable_ifIXsr15benchmark_utilsE35device_test_enabled_for_warp_size_vIXT1_EEEvE4typeEPKT_PT0_PS3_,comdat
	.protected	_Z28segmented_warp_reduce_kernelIfhLj16ELj100EENSt9enable_ifIXsr15benchmark_utilsE35device_test_enabled_for_warp_size_vIXT1_EEEvE4typeEPKT_PT0_PS3_ ; -- Begin function _Z28segmented_warp_reduce_kernelIfhLj16ELj100EENSt9enable_ifIXsr15benchmark_utilsE35device_test_enabled_for_warp_size_vIXT1_EEEvE4typeEPKT_PT0_PS3_
	.globl	_Z28segmented_warp_reduce_kernelIfhLj16ELj100EENSt9enable_ifIXsr15benchmark_utilsE35device_test_enabled_for_warp_size_vIXT1_EEEvE4typeEPKT_PT0_PS3_
	.p2align	8
	.type	_Z28segmented_warp_reduce_kernelIfhLj16ELj100EENSt9enable_ifIXsr15benchmark_utilsE35device_test_enabled_for_warp_size_vIXT1_EEEvE4typeEPKT_PT0_PS3_,@function
_Z28segmented_warp_reduce_kernelIfhLj16ELj100EENSt9enable_ifIXsr15benchmark_utilsE35device_test_enabled_for_warp_size_vIXT1_EEEvE4typeEPKT_PT0_PS3_: ; @_Z28segmented_warp_reduce_kernelIfhLj16ELj100EENSt9enable_ifIXsr15benchmark_utilsE35device_test_enabled_for_warp_size_vIXT1_EEEvE4typeEPKT_PT0_PS3_
; %bb.0:
	s_load_dword s0, s[4:5], 0x24
	s_load_dwordx4 s[8:11], s[4:5], 0x0
	s_load_dwordx2 s[2:3], s[4:5], 0x10
	v_mov_b32_e32 v1, 0
	s_movk_i32 s4, 0x64
	s_waitcnt lgkmcnt(0)
	s_and_b32 s0, s0, 0xffff
	s_mul_i32 s6, s6, s0
	v_add_u32_e32 v0, s6, v0
	global_load_ubyte v13, v0, s[10:11]
	v_lshlrev_b64 v[0:1], 2, v[0:1]
	v_mov_b32_e32 v3, s9
	v_add_co_u32_e32 v2, vcc, s8, v0
	v_addc_co_u32_e32 v3, vcc, v3, v1, vcc
	global_load_dword v4, v[2:3], off
	v_mbcnt_lo_u32_b32 v2, -1, 0
	v_mbcnt_hi_u32_b32 v12, -1, v2
	v_and_b32_e32 v5, 15, v12
	v_cmp_ne_u32_e32 vcc, 15, v5
	v_addc_co_u32_e32 v10, vcc, 0, v12, vcc
	v_cmp_gt_u32_e32 vcc, 14, v5
	v_cndmask_b32_e64 v11, 0, 2, vcc
	v_cmp_gt_u32_e32 vcc, 12, v5
	v_cndmask_b32_e64 v15, 0, 4, vcc
	v_lshlrev_b64 v[2:3], v12, -1
	v_and_b32_e32 v14, 0x70, v12
	v_lshl_or_b32 v6, v12, 2, 32
	v_add_u32_e32 v7, 2, v5
	v_add_u32_e32 v8, 4, v5
	;; [unrolled: 1-line block ×3, first 2 shown]
	v_lshlrev_b32_e32 v10, 2, v10
	v_add_lshl_u32 v11, v11, v12, 2
	v_add_lshl_u32 v12, v15, v12, 2
	s_waitcnt vmcnt(1)
	v_cmp_ne_u16_e32 vcc, 0, v13
	v_cndmask_b32_e64 v13, 0, 1, vcc
	v_cmp_ne_u32_e32 vcc, 0, v13
	s_lshr_b64 s[0:1], vcc, 1
	v_and_b32_e32 v3, s1, v3
	v_and_b32_e32 v2, s0, v2
	v_lshrrev_b64 v[2:3], v14, v[2:3]
	v_or_b32_e32 v2, 0x8000, v2
	v_ffbl_b32_e32 v2, v2
.LBB43_1:                               ; =>This Inner Loop Header: Depth=1
	s_waitcnt vmcnt(0)
	ds_bpermute_b32 v13, v10, v4
	v_ffbl_b32_e32 v14, v3
	v_add_u32_e32 v14, 32, v14
	v_min_u32_e32 v14, v2, v14
	v_cmp_lt_u32_e32 vcc, v5, v14
	s_waitcnt lgkmcnt(0)
	v_add_f32_e32 v13, v4, v13
	v_cndmask_b32_e32 v13, v4, v13, vcc
	ds_bpermute_b32 v15, v11, v13
	v_cmp_gt_u32_e64 s[0:1], v7, v14
	s_add_i32 s4, s4, -1
	s_cmp_eq_u32 s4, 0
	s_waitcnt lgkmcnt(0)
	v_add_f32_e32 v15, v13, v15
	v_cndmask_b32_e64 v13, v15, v13, s[0:1]
	ds_bpermute_b32 v15, v12, v13
	v_cmp_gt_u32_e64 s[0:1], v8, v14
	s_waitcnt lgkmcnt(0)
	v_add_f32_e32 v15, v13, v15
	v_cndmask_b32_e64 v13, v15, v13, s[0:1]
	ds_bpermute_b32 v15, v6, v13
	v_cmp_gt_u32_e64 s[0:1], v9, v14
	s_waitcnt lgkmcnt(0)
	v_add_f32_e32 v15, v13, v15
	v_cndmask_b32_e64 v13, v15, v13, s[0:1]
	v_cndmask_b32_e32 v4, v4, v13, vcc
	s_cbranch_scc0 .LBB43_1
; %bb.2:
	v_mov_b32_e32 v2, s3
	v_add_co_u32_e32 v0, vcc, s2, v0
	v_addc_co_u32_e32 v1, vcc, v2, v1, vcc
	global_store_dword v[0:1], v4, off
	s_endpgm
	.section	.rodata,"a",@progbits
	.p2align	6, 0x0
	.amdhsa_kernel _Z28segmented_warp_reduce_kernelIfhLj16ELj100EENSt9enable_ifIXsr15benchmark_utilsE35device_test_enabled_for_warp_size_vIXT1_EEEvE4typeEPKT_PT0_PS3_
		.amdhsa_group_segment_fixed_size 0
		.amdhsa_private_segment_fixed_size 0
		.amdhsa_kernarg_size 280
		.amdhsa_user_sgpr_count 6
		.amdhsa_user_sgpr_private_segment_buffer 1
		.amdhsa_user_sgpr_dispatch_ptr 0
		.amdhsa_user_sgpr_queue_ptr 0
		.amdhsa_user_sgpr_kernarg_segment_ptr 1
		.amdhsa_user_sgpr_dispatch_id 0
		.amdhsa_user_sgpr_flat_scratch_init 0
		.amdhsa_user_sgpr_private_segment_size 0
		.amdhsa_uses_dynamic_stack 0
		.amdhsa_system_sgpr_private_segment_wavefront_offset 0
		.amdhsa_system_sgpr_workgroup_id_x 1
		.amdhsa_system_sgpr_workgroup_id_y 0
		.amdhsa_system_sgpr_workgroup_id_z 0
		.amdhsa_system_sgpr_workgroup_info 0
		.amdhsa_system_vgpr_workitem_id 0
		.amdhsa_next_free_vgpr 16
		.amdhsa_next_free_sgpr 12
		.amdhsa_reserve_vcc 1
		.amdhsa_reserve_flat_scratch 0
		.amdhsa_float_round_mode_32 0
		.amdhsa_float_round_mode_16_64 0
		.amdhsa_float_denorm_mode_32 3
		.amdhsa_float_denorm_mode_16_64 3
		.amdhsa_dx10_clamp 1
		.amdhsa_ieee_mode 1
		.amdhsa_fp16_overflow 0
		.amdhsa_exception_fp_ieee_invalid_op 0
		.amdhsa_exception_fp_denorm_src 0
		.amdhsa_exception_fp_ieee_div_zero 0
		.amdhsa_exception_fp_ieee_overflow 0
		.amdhsa_exception_fp_ieee_underflow 0
		.amdhsa_exception_fp_ieee_inexact 0
		.amdhsa_exception_int_div_zero 0
	.end_amdhsa_kernel
	.section	.text._Z28segmented_warp_reduce_kernelIfhLj16ELj100EENSt9enable_ifIXsr15benchmark_utilsE35device_test_enabled_for_warp_size_vIXT1_EEEvE4typeEPKT_PT0_PS3_,"axG",@progbits,_Z28segmented_warp_reduce_kernelIfhLj16ELj100EENSt9enable_ifIXsr15benchmark_utilsE35device_test_enabled_for_warp_size_vIXT1_EEEvE4typeEPKT_PT0_PS3_,comdat
.Lfunc_end43:
	.size	_Z28segmented_warp_reduce_kernelIfhLj16ELj100EENSt9enable_ifIXsr15benchmark_utilsE35device_test_enabled_for_warp_size_vIXT1_EEEvE4typeEPKT_PT0_PS3_, .Lfunc_end43-_Z28segmented_warp_reduce_kernelIfhLj16ELj100EENSt9enable_ifIXsr15benchmark_utilsE35device_test_enabled_for_warp_size_vIXT1_EEEvE4typeEPKT_PT0_PS3_
                                        ; -- End function
	.set _Z28segmented_warp_reduce_kernelIfhLj16ELj100EENSt9enable_ifIXsr15benchmark_utilsE35device_test_enabled_for_warp_size_vIXT1_EEEvE4typeEPKT_PT0_PS3_.num_vgpr, 16
	.set _Z28segmented_warp_reduce_kernelIfhLj16ELj100EENSt9enable_ifIXsr15benchmark_utilsE35device_test_enabled_for_warp_size_vIXT1_EEEvE4typeEPKT_PT0_PS3_.num_agpr, 0
	.set _Z28segmented_warp_reduce_kernelIfhLj16ELj100EENSt9enable_ifIXsr15benchmark_utilsE35device_test_enabled_for_warp_size_vIXT1_EEEvE4typeEPKT_PT0_PS3_.numbered_sgpr, 12
	.set _Z28segmented_warp_reduce_kernelIfhLj16ELj100EENSt9enable_ifIXsr15benchmark_utilsE35device_test_enabled_for_warp_size_vIXT1_EEEvE4typeEPKT_PT0_PS3_.num_named_barrier, 0
	.set _Z28segmented_warp_reduce_kernelIfhLj16ELj100EENSt9enable_ifIXsr15benchmark_utilsE35device_test_enabled_for_warp_size_vIXT1_EEEvE4typeEPKT_PT0_PS3_.private_seg_size, 0
	.set _Z28segmented_warp_reduce_kernelIfhLj16ELj100EENSt9enable_ifIXsr15benchmark_utilsE35device_test_enabled_for_warp_size_vIXT1_EEEvE4typeEPKT_PT0_PS3_.uses_vcc, 1
	.set _Z28segmented_warp_reduce_kernelIfhLj16ELj100EENSt9enable_ifIXsr15benchmark_utilsE35device_test_enabled_for_warp_size_vIXT1_EEEvE4typeEPKT_PT0_PS3_.uses_flat_scratch, 0
	.set _Z28segmented_warp_reduce_kernelIfhLj16ELj100EENSt9enable_ifIXsr15benchmark_utilsE35device_test_enabled_for_warp_size_vIXT1_EEEvE4typeEPKT_PT0_PS3_.has_dyn_sized_stack, 0
	.set _Z28segmented_warp_reduce_kernelIfhLj16ELj100EENSt9enable_ifIXsr15benchmark_utilsE35device_test_enabled_for_warp_size_vIXT1_EEEvE4typeEPKT_PT0_PS3_.has_recursion, 0
	.set _Z28segmented_warp_reduce_kernelIfhLj16ELj100EENSt9enable_ifIXsr15benchmark_utilsE35device_test_enabled_for_warp_size_vIXT1_EEEvE4typeEPKT_PT0_PS3_.has_indirect_call, 0
	.section	.AMDGPU.csdata,"",@progbits
; Kernel info:
; codeLenInByte = 424
; TotalNumSgprs: 16
; NumVgprs: 16
; ScratchSize: 0
; MemoryBound: 0
; FloatMode: 240
; IeeeMode: 1
; LDSByteSize: 0 bytes/workgroup (compile time only)
; SGPRBlocks: 1
; VGPRBlocks: 3
; NumSGPRsForWavesPerEU: 16
; NumVGPRsForWavesPerEU: 16
; Occupancy: 10
; WaveLimiterHint : 0
; COMPUTE_PGM_RSRC2:SCRATCH_EN: 0
; COMPUTE_PGM_RSRC2:USER_SGPR: 6
; COMPUTE_PGM_RSRC2:TRAP_HANDLER: 0
; COMPUTE_PGM_RSRC2:TGID_X_EN: 1
; COMPUTE_PGM_RSRC2:TGID_Y_EN: 0
; COMPUTE_PGM_RSRC2:TGID_Z_EN: 0
; COMPUTE_PGM_RSRC2:TIDIG_COMP_CNT: 0
	.section	.text._Z28segmented_warp_reduce_kernelIfhLj31ELj100EENSt9enable_ifIXsr15benchmark_utilsE35device_test_enabled_for_warp_size_vIXT1_EEEvE4typeEPKT_PT0_PS3_,"axG",@progbits,_Z28segmented_warp_reduce_kernelIfhLj31ELj100EENSt9enable_ifIXsr15benchmark_utilsE35device_test_enabled_for_warp_size_vIXT1_EEEvE4typeEPKT_PT0_PS3_,comdat
	.protected	_Z28segmented_warp_reduce_kernelIfhLj31ELj100EENSt9enable_ifIXsr15benchmark_utilsE35device_test_enabled_for_warp_size_vIXT1_EEEvE4typeEPKT_PT0_PS3_ ; -- Begin function _Z28segmented_warp_reduce_kernelIfhLj31ELj100EENSt9enable_ifIXsr15benchmark_utilsE35device_test_enabled_for_warp_size_vIXT1_EEEvE4typeEPKT_PT0_PS3_
	.globl	_Z28segmented_warp_reduce_kernelIfhLj31ELj100EENSt9enable_ifIXsr15benchmark_utilsE35device_test_enabled_for_warp_size_vIXT1_EEEvE4typeEPKT_PT0_PS3_
	.p2align	8
	.type	_Z28segmented_warp_reduce_kernelIfhLj31ELj100EENSt9enable_ifIXsr15benchmark_utilsE35device_test_enabled_for_warp_size_vIXT1_EEEvE4typeEPKT_PT0_PS3_,@function
_Z28segmented_warp_reduce_kernelIfhLj31ELj100EENSt9enable_ifIXsr15benchmark_utilsE35device_test_enabled_for_warp_size_vIXT1_EEEvE4typeEPKT_PT0_PS3_: ; @_Z28segmented_warp_reduce_kernelIfhLj31ELj100EENSt9enable_ifIXsr15benchmark_utilsE35device_test_enabled_for_warp_size_vIXT1_EEEvE4typeEPKT_PT0_PS3_
; %bb.0:
	s_load_dword s2, s[4:5], 0x24
	s_load_dwordx4 s[8:11], s[4:5], 0x0
	s_load_dwordx2 s[0:1], s[4:5], 0x10
	v_mov_b32_e32 v3, 0
	s_movk_i32 s4, 0x64
	s_waitcnt lgkmcnt(0)
	s_and_b32 s2, s2, 0xffff
	s_mul_i32 s6, s6, s2
	v_add_u32_e32 v2, s6, v0
	v_lshlrev_b64 v[0:1], 2, v[2:3]
	v_mov_b32_e32 v3, s9
	global_load_ubyte v12, v2, s[10:11]
	v_add_co_u32_e32 v2, vcc, s8, v0
	v_addc_co_u32_e32 v3, vcc, v3, v1, vcc
	global_load_dword v4, v[2:3], off
	v_mbcnt_lo_u32_b32 v2, -1, 0
	v_mbcnt_hi_u32_b32 v2, -1, v2
	s_mov_b32 s2, 0x8421085
	v_mul_hi_u32 v3, v2, s2
	v_mul_u32_u24_e32 v5, 31, v3
	v_sub_u32_e32 v6, v2, v5
	v_lshlrev_b64 v[2:3], v2, -1
	v_lshlrev_b32_e32 v7, 2, v6
	v_add_u32_e32 v8, 2, v6
	v_add_u32_e32 v9, 4, v6
	;; [unrolled: 1-line block ×4, first 2 shown]
	s_waitcnt vmcnt(1)
	v_cmp_ne_u16_e32 vcc, 0, v12
	v_cndmask_b32_e64 v12, 0, 1, vcc
	s_branch .LBB44_2
.LBB44_1:                               ;   in Loop: Header=BB44_2 Depth=1
	s_or_b64 exec, exec, s[2:3]
	s_add_i32 s4, s4, -1
	s_cmp_eq_u32 s4, 0
	; wave barrier
	s_cbranch_scc1 .LBB44_12
.LBB44_2:                               ; =>This Inner Loop Header: Depth=1
	v_cmp_ne_u32_e32 vcc, 0, v12
	s_lshr_b64 s[2:3], vcc, 1
	v_and_b32_e32 v14, s3, v3
	v_and_b32_e32 v13, s2, v2
	v_lshrrev_b64 v[13:14], v5, v[13:14]
	s_waitcnt vmcnt(0)
	ds_write_b32 v7, v4
	v_or_b32_e32 v13, 2.0, v13
	v_ffbl_b32_e32 v14, v14
	v_add_u32_e32 v14, 32, v14
	v_ffbl_b32_e32 v13, v13
	v_min_u32_e32 v13, v13, v14
	v_cmp_lt_u32_e32 vcc, v6, v13
	; wave barrier
	s_and_saveexec_b64 s[2:3], vcc
	s_cbranch_execz .LBB44_4
; %bb.3:                                ;   in Loop: Header=BB44_2 Depth=1
	ds_read_b32 v14, v7 offset:4
	s_waitcnt lgkmcnt(0)
	v_add_f32_e32 v4, v4, v14
.LBB44_4:                               ;   in Loop: Header=BB44_2 Depth=1
	s_or_b64 exec, exec, s[2:3]
	v_cmp_le_u32_e32 vcc, v8, v13
	; wave barrier
	ds_write_b32 v7, v4
	; wave barrier
	s_and_saveexec_b64 s[2:3], vcc
	s_cbranch_execz .LBB44_6
; %bb.5:                                ;   in Loop: Header=BB44_2 Depth=1
	ds_read_b32 v14, v7 offset:8
	s_waitcnt lgkmcnt(0)
	v_add_f32_e32 v4, v4, v14
.LBB44_6:                               ;   in Loop: Header=BB44_2 Depth=1
	s_or_b64 exec, exec, s[2:3]
	v_cmp_le_u32_e32 vcc, v9, v13
	; wave barrier
	ds_write_b32 v7, v4
	;; [unrolled: 12-line block ×3, first 2 shown]
	; wave barrier
	s_and_saveexec_b64 s[2:3], vcc
	s_cbranch_execz .LBB44_10
; %bb.9:                                ;   in Loop: Header=BB44_2 Depth=1
	ds_read_b32 v14, v7 offset:32
	s_waitcnt lgkmcnt(0)
	v_add_f32_e32 v4, v4, v14
.LBB44_10:                              ;   in Loop: Header=BB44_2 Depth=1
	s_or_b64 exec, exec, s[2:3]
	v_cmp_le_u32_e32 vcc, v11, v13
	; wave barrier
	ds_write_b32 v7, v4
	; wave barrier
	s_and_saveexec_b64 s[2:3], vcc
	s_cbranch_execz .LBB44_1
; %bb.11:                               ;   in Loop: Header=BB44_2 Depth=1
	ds_read_b32 v13, v7 offset:64
	s_waitcnt lgkmcnt(0)
	v_add_f32_e32 v4, v4, v13
	s_branch .LBB44_1
.LBB44_12:
	v_mov_b32_e32 v2, s1
	v_add_co_u32_e32 v0, vcc, s0, v0
	v_addc_co_u32_e32 v1, vcc, v2, v1, vcc
	global_store_dword v[0:1], v4, off
	s_endpgm
	.section	.rodata,"a",@progbits
	.p2align	6, 0x0
	.amdhsa_kernel _Z28segmented_warp_reduce_kernelIfhLj31ELj100EENSt9enable_ifIXsr15benchmark_utilsE35device_test_enabled_for_warp_size_vIXT1_EEEvE4typeEPKT_PT0_PS3_
		.amdhsa_group_segment_fixed_size 124
		.amdhsa_private_segment_fixed_size 0
		.amdhsa_kernarg_size 280
		.amdhsa_user_sgpr_count 6
		.amdhsa_user_sgpr_private_segment_buffer 1
		.amdhsa_user_sgpr_dispatch_ptr 0
		.amdhsa_user_sgpr_queue_ptr 0
		.amdhsa_user_sgpr_kernarg_segment_ptr 1
		.amdhsa_user_sgpr_dispatch_id 0
		.amdhsa_user_sgpr_flat_scratch_init 0
		.amdhsa_user_sgpr_private_segment_size 0
		.amdhsa_uses_dynamic_stack 0
		.amdhsa_system_sgpr_private_segment_wavefront_offset 0
		.amdhsa_system_sgpr_workgroup_id_x 1
		.amdhsa_system_sgpr_workgroup_id_y 0
		.amdhsa_system_sgpr_workgroup_id_z 0
		.amdhsa_system_sgpr_workgroup_info 0
		.amdhsa_system_vgpr_workitem_id 0
		.amdhsa_next_free_vgpr 15
		.amdhsa_next_free_sgpr 12
		.amdhsa_reserve_vcc 1
		.amdhsa_reserve_flat_scratch 0
		.amdhsa_float_round_mode_32 0
		.amdhsa_float_round_mode_16_64 0
		.amdhsa_float_denorm_mode_32 3
		.amdhsa_float_denorm_mode_16_64 3
		.amdhsa_dx10_clamp 1
		.amdhsa_ieee_mode 1
		.amdhsa_fp16_overflow 0
		.amdhsa_exception_fp_ieee_invalid_op 0
		.amdhsa_exception_fp_denorm_src 0
		.amdhsa_exception_fp_ieee_div_zero 0
		.amdhsa_exception_fp_ieee_overflow 0
		.amdhsa_exception_fp_ieee_underflow 0
		.amdhsa_exception_fp_ieee_inexact 0
		.amdhsa_exception_int_div_zero 0
	.end_amdhsa_kernel
	.section	.text._Z28segmented_warp_reduce_kernelIfhLj31ELj100EENSt9enable_ifIXsr15benchmark_utilsE35device_test_enabled_for_warp_size_vIXT1_EEEvE4typeEPKT_PT0_PS3_,"axG",@progbits,_Z28segmented_warp_reduce_kernelIfhLj31ELj100EENSt9enable_ifIXsr15benchmark_utilsE35device_test_enabled_for_warp_size_vIXT1_EEEvE4typeEPKT_PT0_PS3_,comdat
.Lfunc_end44:
	.size	_Z28segmented_warp_reduce_kernelIfhLj31ELj100EENSt9enable_ifIXsr15benchmark_utilsE35device_test_enabled_for_warp_size_vIXT1_EEEvE4typeEPKT_PT0_PS3_, .Lfunc_end44-_Z28segmented_warp_reduce_kernelIfhLj31ELj100EENSt9enable_ifIXsr15benchmark_utilsE35device_test_enabled_for_warp_size_vIXT1_EEEvE4typeEPKT_PT0_PS3_
                                        ; -- End function
	.set _Z28segmented_warp_reduce_kernelIfhLj31ELj100EENSt9enable_ifIXsr15benchmark_utilsE35device_test_enabled_for_warp_size_vIXT1_EEEvE4typeEPKT_PT0_PS3_.num_vgpr, 15
	.set _Z28segmented_warp_reduce_kernelIfhLj31ELj100EENSt9enable_ifIXsr15benchmark_utilsE35device_test_enabled_for_warp_size_vIXT1_EEEvE4typeEPKT_PT0_PS3_.num_agpr, 0
	.set _Z28segmented_warp_reduce_kernelIfhLj31ELj100EENSt9enable_ifIXsr15benchmark_utilsE35device_test_enabled_for_warp_size_vIXT1_EEEvE4typeEPKT_PT0_PS3_.numbered_sgpr, 12
	.set _Z28segmented_warp_reduce_kernelIfhLj31ELj100EENSt9enable_ifIXsr15benchmark_utilsE35device_test_enabled_for_warp_size_vIXT1_EEEvE4typeEPKT_PT0_PS3_.num_named_barrier, 0
	.set _Z28segmented_warp_reduce_kernelIfhLj31ELj100EENSt9enable_ifIXsr15benchmark_utilsE35device_test_enabled_for_warp_size_vIXT1_EEEvE4typeEPKT_PT0_PS3_.private_seg_size, 0
	.set _Z28segmented_warp_reduce_kernelIfhLj31ELj100EENSt9enable_ifIXsr15benchmark_utilsE35device_test_enabled_for_warp_size_vIXT1_EEEvE4typeEPKT_PT0_PS3_.uses_vcc, 1
	.set _Z28segmented_warp_reduce_kernelIfhLj31ELj100EENSt9enable_ifIXsr15benchmark_utilsE35device_test_enabled_for_warp_size_vIXT1_EEEvE4typeEPKT_PT0_PS3_.uses_flat_scratch, 0
	.set _Z28segmented_warp_reduce_kernelIfhLj31ELj100EENSt9enable_ifIXsr15benchmark_utilsE35device_test_enabled_for_warp_size_vIXT1_EEEvE4typeEPKT_PT0_PS3_.has_dyn_sized_stack, 0
	.set _Z28segmented_warp_reduce_kernelIfhLj31ELj100EENSt9enable_ifIXsr15benchmark_utilsE35device_test_enabled_for_warp_size_vIXT1_EEEvE4typeEPKT_PT0_PS3_.has_recursion, 0
	.set _Z28segmented_warp_reduce_kernelIfhLj31ELj100EENSt9enable_ifIXsr15benchmark_utilsE35device_test_enabled_for_warp_size_vIXT1_EEEvE4typeEPKT_PT0_PS3_.has_indirect_call, 0
	.section	.AMDGPU.csdata,"",@progbits
; Kernel info:
; codeLenInByte = 464
; TotalNumSgprs: 16
; NumVgprs: 15
; ScratchSize: 0
; MemoryBound: 0
; FloatMode: 240
; IeeeMode: 1
; LDSByteSize: 124 bytes/workgroup (compile time only)
; SGPRBlocks: 1
; VGPRBlocks: 3
; NumSGPRsForWavesPerEU: 16
; NumVGPRsForWavesPerEU: 15
; Occupancy: 10
; WaveLimiterHint : 0
; COMPUTE_PGM_RSRC2:SCRATCH_EN: 0
; COMPUTE_PGM_RSRC2:USER_SGPR: 6
; COMPUTE_PGM_RSRC2:TRAP_HANDLER: 0
; COMPUTE_PGM_RSRC2:TGID_X_EN: 1
; COMPUTE_PGM_RSRC2:TGID_Y_EN: 0
; COMPUTE_PGM_RSRC2:TGID_Z_EN: 0
; COMPUTE_PGM_RSRC2:TIDIG_COMP_CNT: 0
	.section	.text._Z28segmented_warp_reduce_kernelIfhLj32ELj100EENSt9enable_ifIXsr15benchmark_utilsE35device_test_enabled_for_warp_size_vIXT1_EEEvE4typeEPKT_PT0_PS3_,"axG",@progbits,_Z28segmented_warp_reduce_kernelIfhLj32ELj100EENSt9enable_ifIXsr15benchmark_utilsE35device_test_enabled_for_warp_size_vIXT1_EEEvE4typeEPKT_PT0_PS3_,comdat
	.protected	_Z28segmented_warp_reduce_kernelIfhLj32ELj100EENSt9enable_ifIXsr15benchmark_utilsE35device_test_enabled_for_warp_size_vIXT1_EEEvE4typeEPKT_PT0_PS3_ ; -- Begin function _Z28segmented_warp_reduce_kernelIfhLj32ELj100EENSt9enable_ifIXsr15benchmark_utilsE35device_test_enabled_for_warp_size_vIXT1_EEEvE4typeEPKT_PT0_PS3_
	.globl	_Z28segmented_warp_reduce_kernelIfhLj32ELj100EENSt9enable_ifIXsr15benchmark_utilsE35device_test_enabled_for_warp_size_vIXT1_EEEvE4typeEPKT_PT0_PS3_
	.p2align	8
	.type	_Z28segmented_warp_reduce_kernelIfhLj32ELj100EENSt9enable_ifIXsr15benchmark_utilsE35device_test_enabled_for_warp_size_vIXT1_EEEvE4typeEPKT_PT0_PS3_,@function
_Z28segmented_warp_reduce_kernelIfhLj32ELj100EENSt9enable_ifIXsr15benchmark_utilsE35device_test_enabled_for_warp_size_vIXT1_EEEvE4typeEPKT_PT0_PS3_: ; @_Z28segmented_warp_reduce_kernelIfhLj32ELj100EENSt9enable_ifIXsr15benchmark_utilsE35device_test_enabled_for_warp_size_vIXT1_EEEvE4typeEPKT_PT0_PS3_
; %bb.0:
	s_load_dword s7, s[4:5], 0x24
	s_load_dwordx4 s[0:3], s[4:5], 0x0
	s_load_dwordx2 s[8:9], s[4:5], 0x10
	v_mov_b32_e32 v3, 0
	s_waitcnt lgkmcnt(0)
	s_and_b32 s4, s7, 0xffff
	s_mul_i32 s6, s6, s4
	v_add_u32_e32 v2, s6, v0
	v_lshlrev_b64 v[0:1], 2, v[2:3]
	v_mov_b32_e32 v3, s1
	global_load_ubyte v14, v2, s[2:3]
	v_add_co_u32_e32 v2, vcc, s0, v0
	v_addc_co_u32_e32 v3, vcc, v3, v1, vcc
	global_load_dword v4, v[2:3], off
	v_mbcnt_lo_u32_b32 v2, -1, 0
	v_mbcnt_hi_u32_b32 v15, -1, v2
	v_and_b32_e32 v6, 31, v15
	v_cmp_ne_u32_e32 vcc, 31, v6
	v_addc_co_u32_e32 v10, vcc, 0, v15, vcc
	v_cmp_gt_u32_e32 vcc, 30, v6
	v_cndmask_b32_e64 v11, 0, 2, vcc
	v_cmp_gt_u32_e32 vcc, 28, v6
	v_cndmask_b32_e64 v12, 0, 4, vcc
	v_cmp_gt_u32_e32 vcc, 24, v6
	v_lshlrev_b64 v[2:3], v15, -1
	v_cndmask_b32_e64 v13, 0, 8, vcc
	v_and_b32_e32 v5, 0x60, v15
	v_add_u32_e32 v7, 2, v6
	v_add_u32_e32 v8, 4, v6
	;; [unrolled: 1-line block ×3, first 2 shown]
	v_lshlrev_b32_e32 v10, 2, v10
	v_add_lshl_u32 v11, v11, v15, 2
	v_add_lshl_u32 v12, v12, v15, 2
	;; [unrolled: 1-line block ×3, first 2 shown]
	v_lshl_or_b32 v15, v15, 2, 64
	s_movk_i32 s4, 0x64
	s_waitcnt vmcnt(1)
	v_cmp_ne_u16_e32 vcc, 0, v14
	v_add_u32_e32 v14, 16, v6
.LBB45_1:                               ; =>This Inner Loop Header: Depth=1
	v_cndmask_b32_e64 v16, 0, 1, vcc
	v_cmp_ne_u32_e64 s[0:1], 0, v16
	s_lshr_b64 s[0:1], s[0:1], 1
	v_and_b32_e32 v17, s1, v3
	v_and_b32_e32 v16, s0, v2
	s_waitcnt vmcnt(0)
	ds_bpermute_b32 v18, v10, v4
	v_lshrrev_b64 v[16:17], v5, v[16:17]
	s_add_i32 s4, s4, -1
	v_or_b32_e32 v16, 0x80000000, v16
	v_ffbl_b32_e32 v17, v17
	v_add_u32_e32 v17, 32, v17
	v_ffbl_b32_e32 v16, v16
	v_min_u32_e32 v16, v16, v17
	s_waitcnt lgkmcnt(0)
	v_add_f32_e32 v18, v4, v18
	v_cmp_lt_u32_e64 s[0:1], v6, v16
	v_cndmask_b32_e64 v17, v4, v18, s[0:1]
	ds_bpermute_b32 v18, v11, v17
	v_cmp_gt_u32_e64 s[2:3], v7, v16
	s_cmp_eq_u32 s4, 0
	s_waitcnt lgkmcnt(0)
	v_add_f32_e32 v18, v17, v18
	v_cndmask_b32_e64 v17, v18, v17, s[2:3]
	ds_bpermute_b32 v18, v12, v17
	v_cmp_gt_u32_e64 s[2:3], v8, v16
	s_waitcnt lgkmcnt(0)
	v_add_f32_e32 v18, v17, v18
	v_cndmask_b32_e64 v17, v18, v17, s[2:3]
	ds_bpermute_b32 v18, v13, v17
	v_cmp_gt_u32_e64 s[2:3], v9, v16
	;; [unrolled: 5-line block ×3, first 2 shown]
	s_waitcnt lgkmcnt(0)
	v_add_f32_e32 v18, v17, v18
	v_cndmask_b32_e64 v16, v18, v17, s[2:3]
	v_cndmask_b32_e64 v4, v4, v16, s[0:1]
	s_cbranch_scc0 .LBB45_1
; %bb.2:
	v_mov_b32_e32 v2, s9
	v_add_co_u32_e32 v0, vcc, s8, v0
	v_addc_co_u32_e32 v1, vcc, v2, v1, vcc
	global_store_dword v[0:1], v4, off
	s_endpgm
	.section	.rodata,"a",@progbits
	.p2align	6, 0x0
	.amdhsa_kernel _Z28segmented_warp_reduce_kernelIfhLj32ELj100EENSt9enable_ifIXsr15benchmark_utilsE35device_test_enabled_for_warp_size_vIXT1_EEEvE4typeEPKT_PT0_PS3_
		.amdhsa_group_segment_fixed_size 0
		.amdhsa_private_segment_fixed_size 0
		.amdhsa_kernarg_size 280
		.amdhsa_user_sgpr_count 6
		.amdhsa_user_sgpr_private_segment_buffer 1
		.amdhsa_user_sgpr_dispatch_ptr 0
		.amdhsa_user_sgpr_queue_ptr 0
		.amdhsa_user_sgpr_kernarg_segment_ptr 1
		.amdhsa_user_sgpr_dispatch_id 0
		.amdhsa_user_sgpr_flat_scratch_init 0
		.amdhsa_user_sgpr_private_segment_size 0
		.amdhsa_uses_dynamic_stack 0
		.amdhsa_system_sgpr_private_segment_wavefront_offset 0
		.amdhsa_system_sgpr_workgroup_id_x 1
		.amdhsa_system_sgpr_workgroup_id_y 0
		.amdhsa_system_sgpr_workgroup_id_z 0
		.amdhsa_system_sgpr_workgroup_info 0
		.amdhsa_system_vgpr_workitem_id 0
		.amdhsa_next_free_vgpr 19
		.amdhsa_next_free_sgpr 10
		.amdhsa_reserve_vcc 1
		.amdhsa_reserve_flat_scratch 0
		.amdhsa_float_round_mode_32 0
		.amdhsa_float_round_mode_16_64 0
		.amdhsa_float_denorm_mode_32 3
		.amdhsa_float_denorm_mode_16_64 3
		.amdhsa_dx10_clamp 1
		.amdhsa_ieee_mode 1
		.amdhsa_fp16_overflow 0
		.amdhsa_exception_fp_ieee_invalid_op 0
		.amdhsa_exception_fp_denorm_src 0
		.amdhsa_exception_fp_ieee_div_zero 0
		.amdhsa_exception_fp_ieee_overflow 0
		.amdhsa_exception_fp_ieee_underflow 0
		.amdhsa_exception_fp_ieee_inexact 0
		.amdhsa_exception_int_div_zero 0
	.end_amdhsa_kernel
	.section	.text._Z28segmented_warp_reduce_kernelIfhLj32ELj100EENSt9enable_ifIXsr15benchmark_utilsE35device_test_enabled_for_warp_size_vIXT1_EEEvE4typeEPKT_PT0_PS3_,"axG",@progbits,_Z28segmented_warp_reduce_kernelIfhLj32ELj100EENSt9enable_ifIXsr15benchmark_utilsE35device_test_enabled_for_warp_size_vIXT1_EEEvE4typeEPKT_PT0_PS3_,comdat
.Lfunc_end45:
	.size	_Z28segmented_warp_reduce_kernelIfhLj32ELj100EENSt9enable_ifIXsr15benchmark_utilsE35device_test_enabled_for_warp_size_vIXT1_EEEvE4typeEPKT_PT0_PS3_, .Lfunc_end45-_Z28segmented_warp_reduce_kernelIfhLj32ELj100EENSt9enable_ifIXsr15benchmark_utilsE35device_test_enabled_for_warp_size_vIXT1_EEEvE4typeEPKT_PT0_PS3_
                                        ; -- End function
	.set _Z28segmented_warp_reduce_kernelIfhLj32ELj100EENSt9enable_ifIXsr15benchmark_utilsE35device_test_enabled_for_warp_size_vIXT1_EEEvE4typeEPKT_PT0_PS3_.num_vgpr, 19
	.set _Z28segmented_warp_reduce_kernelIfhLj32ELj100EENSt9enable_ifIXsr15benchmark_utilsE35device_test_enabled_for_warp_size_vIXT1_EEEvE4typeEPKT_PT0_PS3_.num_agpr, 0
	.set _Z28segmented_warp_reduce_kernelIfhLj32ELj100EENSt9enable_ifIXsr15benchmark_utilsE35device_test_enabled_for_warp_size_vIXT1_EEEvE4typeEPKT_PT0_PS3_.numbered_sgpr, 10
	.set _Z28segmented_warp_reduce_kernelIfhLj32ELj100EENSt9enable_ifIXsr15benchmark_utilsE35device_test_enabled_for_warp_size_vIXT1_EEEvE4typeEPKT_PT0_PS3_.num_named_barrier, 0
	.set _Z28segmented_warp_reduce_kernelIfhLj32ELj100EENSt9enable_ifIXsr15benchmark_utilsE35device_test_enabled_for_warp_size_vIXT1_EEEvE4typeEPKT_PT0_PS3_.private_seg_size, 0
	.set _Z28segmented_warp_reduce_kernelIfhLj32ELj100EENSt9enable_ifIXsr15benchmark_utilsE35device_test_enabled_for_warp_size_vIXT1_EEEvE4typeEPKT_PT0_PS3_.uses_vcc, 1
	.set _Z28segmented_warp_reduce_kernelIfhLj32ELj100EENSt9enable_ifIXsr15benchmark_utilsE35device_test_enabled_for_warp_size_vIXT1_EEEvE4typeEPKT_PT0_PS3_.uses_flat_scratch, 0
	.set _Z28segmented_warp_reduce_kernelIfhLj32ELj100EENSt9enable_ifIXsr15benchmark_utilsE35device_test_enabled_for_warp_size_vIXT1_EEEvE4typeEPKT_PT0_PS3_.has_dyn_sized_stack, 0
	.set _Z28segmented_warp_reduce_kernelIfhLj32ELj100EENSt9enable_ifIXsr15benchmark_utilsE35device_test_enabled_for_warp_size_vIXT1_EEEvE4typeEPKT_PT0_PS3_.has_recursion, 0
	.set _Z28segmented_warp_reduce_kernelIfhLj32ELj100EENSt9enable_ifIXsr15benchmark_utilsE35device_test_enabled_for_warp_size_vIXT1_EEEvE4typeEPKT_PT0_PS3_.has_indirect_call, 0
	.section	.AMDGPU.csdata,"",@progbits
; Kernel info:
; codeLenInByte = 496
; TotalNumSgprs: 14
; NumVgprs: 19
; ScratchSize: 0
; MemoryBound: 0
; FloatMode: 240
; IeeeMode: 1
; LDSByteSize: 0 bytes/workgroup (compile time only)
; SGPRBlocks: 1
; VGPRBlocks: 4
; NumSGPRsForWavesPerEU: 14
; NumVGPRsForWavesPerEU: 19
; Occupancy: 10
; WaveLimiterHint : 0
; COMPUTE_PGM_RSRC2:SCRATCH_EN: 0
; COMPUTE_PGM_RSRC2:USER_SGPR: 6
; COMPUTE_PGM_RSRC2:TRAP_HANDLER: 0
; COMPUTE_PGM_RSRC2:TGID_X_EN: 1
; COMPUTE_PGM_RSRC2:TGID_Y_EN: 0
; COMPUTE_PGM_RSRC2:TGID_Z_EN: 0
; COMPUTE_PGM_RSRC2:TIDIG_COMP_CNT: 0
	.section	.text._Z28segmented_warp_reduce_kernelIfhLj37ELj100EENSt9enable_ifIXsr15benchmark_utilsE35device_test_enabled_for_warp_size_vIXT1_EEEvE4typeEPKT_PT0_PS3_,"axG",@progbits,_Z28segmented_warp_reduce_kernelIfhLj37ELj100EENSt9enable_ifIXsr15benchmark_utilsE35device_test_enabled_for_warp_size_vIXT1_EEEvE4typeEPKT_PT0_PS3_,comdat
	.protected	_Z28segmented_warp_reduce_kernelIfhLj37ELj100EENSt9enable_ifIXsr15benchmark_utilsE35device_test_enabled_for_warp_size_vIXT1_EEEvE4typeEPKT_PT0_PS3_ ; -- Begin function _Z28segmented_warp_reduce_kernelIfhLj37ELj100EENSt9enable_ifIXsr15benchmark_utilsE35device_test_enabled_for_warp_size_vIXT1_EEEvE4typeEPKT_PT0_PS3_
	.globl	_Z28segmented_warp_reduce_kernelIfhLj37ELj100EENSt9enable_ifIXsr15benchmark_utilsE35device_test_enabled_for_warp_size_vIXT1_EEEvE4typeEPKT_PT0_PS3_
	.p2align	8
	.type	_Z28segmented_warp_reduce_kernelIfhLj37ELj100EENSt9enable_ifIXsr15benchmark_utilsE35device_test_enabled_for_warp_size_vIXT1_EEEvE4typeEPKT_PT0_PS3_,@function
_Z28segmented_warp_reduce_kernelIfhLj37ELj100EENSt9enable_ifIXsr15benchmark_utilsE35device_test_enabled_for_warp_size_vIXT1_EEEvE4typeEPKT_PT0_PS3_: ; @_Z28segmented_warp_reduce_kernelIfhLj37ELj100EENSt9enable_ifIXsr15benchmark_utilsE35device_test_enabled_for_warp_size_vIXT1_EEEvE4typeEPKT_PT0_PS3_
; %bb.0:
	s_load_dword s2, s[4:5], 0x24
	s_load_dwordx4 s[8:11], s[4:5], 0x0
	s_load_dwordx2 s[0:1], s[4:5], 0x10
	v_mov_b32_e32 v3, 0
	s_movk_i32 s4, 0x64
	s_waitcnt lgkmcnt(0)
	s_and_b32 s2, s2, 0xffff
	s_mul_i32 s6, s6, s2
	v_add_u32_e32 v2, s6, v0
	v_lshlrev_b64 v[0:1], 2, v[2:3]
	v_mov_b32_e32 v3, s9
	global_load_ubyte v13, v2, s[10:11]
	v_add_co_u32_e32 v2, vcc, s8, v0
	v_addc_co_u32_e32 v3, vcc, v3, v1, vcc
	global_load_dword v4, v[2:3], off
	v_mbcnt_lo_u32_b32 v2, -1, 0
	v_mbcnt_hi_u32_b32 v2, -1, v2
	s_mov_b32 s2, 0x6eb3e46
	v_mul_hi_u32 v3, v2, s2
	v_mul_u32_u24_e32 v5, 37, v3
	v_sub_u32_e32 v6, v2, v5
	v_lshlrev_b64 v[2:3], v2, -1
	v_lshlrev_b32_e32 v7, 2, v6
	v_add_u32_e32 v8, 2, v6
	v_add_u32_e32 v9, 4, v6
	v_add_u32_e32 v10, 8, v6
	v_add_u32_e32 v11, 16, v6
	v_add_u32_e32 v12, 32, v6
	s_waitcnt vmcnt(1)
	v_cmp_ne_u16_e32 vcc, 0, v13
	v_cndmask_b32_e64 v13, 0, 1, vcc
	s_branch .LBB46_2
.LBB46_1:                               ;   in Loop: Header=BB46_2 Depth=1
	s_or_b64 exec, exec, s[2:3]
	s_add_i32 s4, s4, -1
	s_cmp_eq_u32 s4, 0
	; wave barrier
	s_cbranch_scc1 .LBB46_14
.LBB46_2:                               ; =>This Inner Loop Header: Depth=1
	v_cmp_ne_u32_e32 vcc, 0, v13
	s_lshr_b64 s[2:3], vcc, 1
	v_and_b32_e32 v15, s3, v3
	v_and_b32_e32 v14, s2, v2
	v_lshrrev_b64 v[14:15], v5, v[14:15]
	s_waitcnt vmcnt(0)
	ds_write_b32 v7, v4
	v_or_b32_e32 v15, 16, v15
	v_ffbl_b32_e32 v15, v15
	v_add_u32_e32 v15, 32, v15
	v_ffbl_b32_e32 v14, v14
	v_min_u32_e32 v14, v14, v15
	v_cmp_lt_u32_e32 vcc, v6, v14
	; wave barrier
	s_and_saveexec_b64 s[2:3], vcc
	s_cbranch_execz .LBB46_4
; %bb.3:                                ;   in Loop: Header=BB46_2 Depth=1
	ds_read_b32 v15, v7 offset:4
	s_waitcnt lgkmcnt(0)
	v_add_f32_e32 v4, v4, v15
.LBB46_4:                               ;   in Loop: Header=BB46_2 Depth=1
	s_or_b64 exec, exec, s[2:3]
	v_cmp_le_u32_e32 vcc, v8, v14
	; wave barrier
	ds_write_b32 v7, v4
	; wave barrier
	s_and_saveexec_b64 s[2:3], vcc
	s_cbranch_execz .LBB46_6
; %bb.5:                                ;   in Loop: Header=BB46_2 Depth=1
	ds_read_b32 v15, v7 offset:8
	s_waitcnt lgkmcnt(0)
	v_add_f32_e32 v4, v4, v15
.LBB46_6:                               ;   in Loop: Header=BB46_2 Depth=1
	s_or_b64 exec, exec, s[2:3]
	v_cmp_le_u32_e32 vcc, v9, v14
	; wave barrier
	ds_write_b32 v7, v4
	;; [unrolled: 12-line block ×3, first 2 shown]
	; wave barrier
	s_and_saveexec_b64 s[2:3], vcc
	s_cbranch_execz .LBB46_10
; %bb.9:                                ;   in Loop: Header=BB46_2 Depth=1
	ds_read_b32 v15, v7 offset:32
	s_waitcnt lgkmcnt(0)
	v_add_f32_e32 v4, v4, v15
.LBB46_10:                              ;   in Loop: Header=BB46_2 Depth=1
	s_or_b64 exec, exec, s[2:3]
	v_cmp_le_u32_e32 vcc, v11, v14
	; wave barrier
	ds_write_b32 v7, v4
	; wave barrier
	s_and_saveexec_b64 s[2:3], vcc
	s_cbranch_execz .LBB46_12
; %bb.11:                               ;   in Loop: Header=BB46_2 Depth=1
	ds_read_b32 v15, v7 offset:64
	s_waitcnt lgkmcnt(0)
	v_add_f32_e32 v4, v4, v15
.LBB46_12:                              ;   in Loop: Header=BB46_2 Depth=1
	s_or_b64 exec, exec, s[2:3]
	v_cmp_le_u32_e32 vcc, v12, v14
	; wave barrier
	ds_write_b32 v7, v4
	; wave barrier
	s_and_saveexec_b64 s[2:3], vcc
	s_cbranch_execz .LBB46_1
; %bb.13:                               ;   in Loop: Header=BB46_2 Depth=1
	ds_read_b32 v14, v7 offset:128
	s_waitcnt lgkmcnt(0)
	v_add_f32_e32 v4, v4, v14
	s_branch .LBB46_1
.LBB46_14:
	v_mov_b32_e32 v2, s1
	v_add_co_u32_e32 v0, vcc, s0, v0
	v_addc_co_u32_e32 v1, vcc, v2, v1, vcc
	global_store_dword v[0:1], v4, off
	s_endpgm
	.section	.rodata,"a",@progbits
	.p2align	6, 0x0
	.amdhsa_kernel _Z28segmented_warp_reduce_kernelIfhLj37ELj100EENSt9enable_ifIXsr15benchmark_utilsE35device_test_enabled_for_warp_size_vIXT1_EEEvE4typeEPKT_PT0_PS3_
		.amdhsa_group_segment_fixed_size 148
		.amdhsa_private_segment_fixed_size 0
		.amdhsa_kernarg_size 280
		.amdhsa_user_sgpr_count 6
		.amdhsa_user_sgpr_private_segment_buffer 1
		.amdhsa_user_sgpr_dispatch_ptr 0
		.amdhsa_user_sgpr_queue_ptr 0
		.amdhsa_user_sgpr_kernarg_segment_ptr 1
		.amdhsa_user_sgpr_dispatch_id 0
		.amdhsa_user_sgpr_flat_scratch_init 0
		.amdhsa_user_sgpr_private_segment_size 0
		.amdhsa_uses_dynamic_stack 0
		.amdhsa_system_sgpr_private_segment_wavefront_offset 0
		.amdhsa_system_sgpr_workgroup_id_x 1
		.amdhsa_system_sgpr_workgroup_id_y 0
		.amdhsa_system_sgpr_workgroup_id_z 0
		.amdhsa_system_sgpr_workgroup_info 0
		.amdhsa_system_vgpr_workitem_id 0
		.amdhsa_next_free_vgpr 16
		.amdhsa_next_free_sgpr 12
		.amdhsa_reserve_vcc 1
		.amdhsa_reserve_flat_scratch 0
		.amdhsa_float_round_mode_32 0
		.amdhsa_float_round_mode_16_64 0
		.amdhsa_float_denorm_mode_32 3
		.amdhsa_float_denorm_mode_16_64 3
		.amdhsa_dx10_clamp 1
		.amdhsa_ieee_mode 1
		.amdhsa_fp16_overflow 0
		.amdhsa_exception_fp_ieee_invalid_op 0
		.amdhsa_exception_fp_denorm_src 0
		.amdhsa_exception_fp_ieee_div_zero 0
		.amdhsa_exception_fp_ieee_overflow 0
		.amdhsa_exception_fp_ieee_underflow 0
		.amdhsa_exception_fp_ieee_inexact 0
		.amdhsa_exception_int_div_zero 0
	.end_amdhsa_kernel
	.section	.text._Z28segmented_warp_reduce_kernelIfhLj37ELj100EENSt9enable_ifIXsr15benchmark_utilsE35device_test_enabled_for_warp_size_vIXT1_EEEvE4typeEPKT_PT0_PS3_,"axG",@progbits,_Z28segmented_warp_reduce_kernelIfhLj37ELj100EENSt9enable_ifIXsr15benchmark_utilsE35device_test_enabled_for_warp_size_vIXT1_EEEvE4typeEPKT_PT0_PS3_,comdat
.Lfunc_end46:
	.size	_Z28segmented_warp_reduce_kernelIfhLj37ELj100EENSt9enable_ifIXsr15benchmark_utilsE35device_test_enabled_for_warp_size_vIXT1_EEEvE4typeEPKT_PT0_PS3_, .Lfunc_end46-_Z28segmented_warp_reduce_kernelIfhLj37ELj100EENSt9enable_ifIXsr15benchmark_utilsE35device_test_enabled_for_warp_size_vIXT1_EEEvE4typeEPKT_PT0_PS3_
                                        ; -- End function
	.set _Z28segmented_warp_reduce_kernelIfhLj37ELj100EENSt9enable_ifIXsr15benchmark_utilsE35device_test_enabled_for_warp_size_vIXT1_EEEvE4typeEPKT_PT0_PS3_.num_vgpr, 16
	.set _Z28segmented_warp_reduce_kernelIfhLj37ELj100EENSt9enable_ifIXsr15benchmark_utilsE35device_test_enabled_for_warp_size_vIXT1_EEEvE4typeEPKT_PT0_PS3_.num_agpr, 0
	.set _Z28segmented_warp_reduce_kernelIfhLj37ELj100EENSt9enable_ifIXsr15benchmark_utilsE35device_test_enabled_for_warp_size_vIXT1_EEEvE4typeEPKT_PT0_PS3_.numbered_sgpr, 12
	.set _Z28segmented_warp_reduce_kernelIfhLj37ELj100EENSt9enable_ifIXsr15benchmark_utilsE35device_test_enabled_for_warp_size_vIXT1_EEEvE4typeEPKT_PT0_PS3_.num_named_barrier, 0
	.set _Z28segmented_warp_reduce_kernelIfhLj37ELj100EENSt9enable_ifIXsr15benchmark_utilsE35device_test_enabled_for_warp_size_vIXT1_EEEvE4typeEPKT_PT0_PS3_.private_seg_size, 0
	.set _Z28segmented_warp_reduce_kernelIfhLj37ELj100EENSt9enable_ifIXsr15benchmark_utilsE35device_test_enabled_for_warp_size_vIXT1_EEEvE4typeEPKT_PT0_PS3_.uses_vcc, 1
	.set _Z28segmented_warp_reduce_kernelIfhLj37ELj100EENSt9enable_ifIXsr15benchmark_utilsE35device_test_enabled_for_warp_size_vIXT1_EEEvE4typeEPKT_PT0_PS3_.uses_flat_scratch, 0
	.set _Z28segmented_warp_reduce_kernelIfhLj37ELj100EENSt9enable_ifIXsr15benchmark_utilsE35device_test_enabled_for_warp_size_vIXT1_EEEvE4typeEPKT_PT0_PS3_.has_dyn_sized_stack, 0
	.set _Z28segmented_warp_reduce_kernelIfhLj37ELj100EENSt9enable_ifIXsr15benchmark_utilsE35device_test_enabled_for_warp_size_vIXT1_EEEvE4typeEPKT_PT0_PS3_.has_recursion, 0
	.set _Z28segmented_warp_reduce_kernelIfhLj37ELj100EENSt9enable_ifIXsr15benchmark_utilsE35device_test_enabled_for_warp_size_vIXT1_EEEvE4typeEPKT_PT0_PS3_.has_indirect_call, 0
	.section	.AMDGPU.csdata,"",@progbits
; Kernel info:
; codeLenInByte = 508
; TotalNumSgprs: 16
; NumVgprs: 16
; ScratchSize: 0
; MemoryBound: 0
; FloatMode: 240
; IeeeMode: 1
; LDSByteSize: 148 bytes/workgroup (compile time only)
; SGPRBlocks: 1
; VGPRBlocks: 3
; NumSGPRsForWavesPerEU: 16
; NumVGPRsForWavesPerEU: 16
; Occupancy: 10
; WaveLimiterHint : 0
; COMPUTE_PGM_RSRC2:SCRATCH_EN: 0
; COMPUTE_PGM_RSRC2:USER_SGPR: 6
; COMPUTE_PGM_RSRC2:TRAP_HANDLER: 0
; COMPUTE_PGM_RSRC2:TGID_X_EN: 1
; COMPUTE_PGM_RSRC2:TGID_Y_EN: 0
; COMPUTE_PGM_RSRC2:TGID_Z_EN: 0
; COMPUTE_PGM_RSRC2:TIDIG_COMP_CNT: 0
	.section	.text._Z28segmented_warp_reduce_kernelIfhLj61ELj100EENSt9enable_ifIXsr15benchmark_utilsE35device_test_enabled_for_warp_size_vIXT1_EEEvE4typeEPKT_PT0_PS3_,"axG",@progbits,_Z28segmented_warp_reduce_kernelIfhLj61ELj100EENSt9enable_ifIXsr15benchmark_utilsE35device_test_enabled_for_warp_size_vIXT1_EEEvE4typeEPKT_PT0_PS3_,comdat
	.protected	_Z28segmented_warp_reduce_kernelIfhLj61ELj100EENSt9enable_ifIXsr15benchmark_utilsE35device_test_enabled_for_warp_size_vIXT1_EEEvE4typeEPKT_PT0_PS3_ ; -- Begin function _Z28segmented_warp_reduce_kernelIfhLj61ELj100EENSt9enable_ifIXsr15benchmark_utilsE35device_test_enabled_for_warp_size_vIXT1_EEEvE4typeEPKT_PT0_PS3_
	.globl	_Z28segmented_warp_reduce_kernelIfhLj61ELj100EENSt9enable_ifIXsr15benchmark_utilsE35device_test_enabled_for_warp_size_vIXT1_EEEvE4typeEPKT_PT0_PS3_
	.p2align	8
	.type	_Z28segmented_warp_reduce_kernelIfhLj61ELj100EENSt9enable_ifIXsr15benchmark_utilsE35device_test_enabled_for_warp_size_vIXT1_EEEvE4typeEPKT_PT0_PS3_,@function
_Z28segmented_warp_reduce_kernelIfhLj61ELj100EENSt9enable_ifIXsr15benchmark_utilsE35device_test_enabled_for_warp_size_vIXT1_EEEvE4typeEPKT_PT0_PS3_: ; @_Z28segmented_warp_reduce_kernelIfhLj61ELj100EENSt9enable_ifIXsr15benchmark_utilsE35device_test_enabled_for_warp_size_vIXT1_EEEvE4typeEPKT_PT0_PS3_
; %bb.0:
	s_load_dword s2, s[4:5], 0x24
	s_load_dwordx4 s[8:11], s[4:5], 0x0
	s_load_dwordx2 s[0:1], s[4:5], 0x10
	v_mov_b32_e32 v3, 0
	s_movk_i32 s4, 0x64
	s_waitcnt lgkmcnt(0)
	s_and_b32 s2, s2, 0xffff
	s_mul_i32 s6, s6, s2
	v_add_u32_e32 v2, s6, v0
	v_lshlrev_b64 v[0:1], 2, v[2:3]
	v_mov_b32_e32 v3, s9
	global_load_ubyte v13, v2, s[10:11]
	v_add_co_u32_e32 v2, vcc, s8, v0
	v_addc_co_u32_e32 v3, vcc, v3, v1, vcc
	global_load_dword v4, v[2:3], off
	v_mbcnt_lo_u32_b32 v2, -1, 0
	v_mbcnt_hi_u32_b32 v2, -1, v2
	s_mov_b32 s2, 0x4325c54
	v_mul_hi_u32 v3, v2, s2
	v_mul_u32_u24_e32 v5, 61, v3
	v_sub_u32_e32 v6, v2, v5
	v_lshlrev_b64 v[2:3], v2, -1
	v_lshlrev_b32_e32 v7, 2, v6
	v_add_u32_e32 v8, 2, v6
	v_add_u32_e32 v9, 4, v6
	;; [unrolled: 1-line block ×5, first 2 shown]
	s_waitcnt vmcnt(1)
	v_cmp_ne_u16_e32 vcc, 0, v13
	v_cndmask_b32_e64 v13, 0, 1, vcc
	s_branch .LBB47_2
.LBB47_1:                               ;   in Loop: Header=BB47_2 Depth=1
	s_or_b64 exec, exec, s[2:3]
	s_add_i32 s4, s4, -1
	s_cmp_eq_u32 s4, 0
	; wave barrier
	s_cbranch_scc1 .LBB47_14
.LBB47_2:                               ; =>This Inner Loop Header: Depth=1
	v_cmp_ne_u32_e32 vcc, 0, v13
	s_lshr_b64 s[2:3], vcc, 1
	v_and_b32_e32 v15, s3, v3
	v_and_b32_e32 v14, s2, v2
	v_lshrrev_b64 v[14:15], v5, v[14:15]
	s_waitcnt vmcnt(0)
	ds_write_b32 v7, v4
	v_or_b32_e32 v15, 0x10000000, v15
	v_ffbl_b32_e32 v15, v15
	v_add_u32_e32 v15, 32, v15
	v_ffbl_b32_e32 v14, v14
	v_min_u32_e32 v14, v14, v15
	v_cmp_lt_u32_e32 vcc, v6, v14
	; wave barrier
	s_and_saveexec_b64 s[2:3], vcc
	s_cbranch_execz .LBB47_4
; %bb.3:                                ;   in Loop: Header=BB47_2 Depth=1
	ds_read_b32 v15, v7 offset:4
	s_waitcnt lgkmcnt(0)
	v_add_f32_e32 v4, v4, v15
.LBB47_4:                               ;   in Loop: Header=BB47_2 Depth=1
	s_or_b64 exec, exec, s[2:3]
	v_cmp_le_u32_e32 vcc, v8, v14
	; wave barrier
	ds_write_b32 v7, v4
	; wave barrier
	s_and_saveexec_b64 s[2:3], vcc
	s_cbranch_execz .LBB47_6
; %bb.5:                                ;   in Loop: Header=BB47_2 Depth=1
	ds_read_b32 v15, v7 offset:8
	s_waitcnt lgkmcnt(0)
	v_add_f32_e32 v4, v4, v15
.LBB47_6:                               ;   in Loop: Header=BB47_2 Depth=1
	s_or_b64 exec, exec, s[2:3]
	v_cmp_le_u32_e32 vcc, v9, v14
	; wave barrier
	ds_write_b32 v7, v4
	;; [unrolled: 12-line block ×3, first 2 shown]
	; wave barrier
	s_and_saveexec_b64 s[2:3], vcc
	s_cbranch_execz .LBB47_10
; %bb.9:                                ;   in Loop: Header=BB47_2 Depth=1
	ds_read_b32 v15, v7 offset:32
	s_waitcnt lgkmcnt(0)
	v_add_f32_e32 v4, v4, v15
.LBB47_10:                              ;   in Loop: Header=BB47_2 Depth=1
	s_or_b64 exec, exec, s[2:3]
	v_cmp_le_u32_e32 vcc, v11, v14
	; wave barrier
	ds_write_b32 v7, v4
	; wave barrier
	s_and_saveexec_b64 s[2:3], vcc
	s_cbranch_execz .LBB47_12
; %bb.11:                               ;   in Loop: Header=BB47_2 Depth=1
	ds_read_b32 v15, v7 offset:64
	s_waitcnt lgkmcnt(0)
	v_add_f32_e32 v4, v4, v15
.LBB47_12:                              ;   in Loop: Header=BB47_2 Depth=1
	s_or_b64 exec, exec, s[2:3]
	v_cmp_le_u32_e32 vcc, v12, v14
	; wave barrier
	ds_write_b32 v7, v4
	; wave barrier
	s_and_saveexec_b64 s[2:3], vcc
	s_cbranch_execz .LBB47_1
; %bb.13:                               ;   in Loop: Header=BB47_2 Depth=1
	ds_read_b32 v14, v7 offset:128
	s_waitcnt lgkmcnt(0)
	v_add_f32_e32 v4, v4, v14
	s_branch .LBB47_1
.LBB47_14:
	v_mov_b32_e32 v2, s1
	v_add_co_u32_e32 v0, vcc, s0, v0
	v_addc_co_u32_e32 v1, vcc, v2, v1, vcc
	global_store_dword v[0:1], v4, off
	s_endpgm
	.section	.rodata,"a",@progbits
	.p2align	6, 0x0
	.amdhsa_kernel _Z28segmented_warp_reduce_kernelIfhLj61ELj100EENSt9enable_ifIXsr15benchmark_utilsE35device_test_enabled_for_warp_size_vIXT1_EEEvE4typeEPKT_PT0_PS3_
		.amdhsa_group_segment_fixed_size 244
		.amdhsa_private_segment_fixed_size 0
		.amdhsa_kernarg_size 280
		.amdhsa_user_sgpr_count 6
		.amdhsa_user_sgpr_private_segment_buffer 1
		.amdhsa_user_sgpr_dispatch_ptr 0
		.amdhsa_user_sgpr_queue_ptr 0
		.amdhsa_user_sgpr_kernarg_segment_ptr 1
		.amdhsa_user_sgpr_dispatch_id 0
		.amdhsa_user_sgpr_flat_scratch_init 0
		.amdhsa_user_sgpr_private_segment_size 0
		.amdhsa_uses_dynamic_stack 0
		.amdhsa_system_sgpr_private_segment_wavefront_offset 0
		.amdhsa_system_sgpr_workgroup_id_x 1
		.amdhsa_system_sgpr_workgroup_id_y 0
		.amdhsa_system_sgpr_workgroup_id_z 0
		.amdhsa_system_sgpr_workgroup_info 0
		.amdhsa_system_vgpr_workitem_id 0
		.amdhsa_next_free_vgpr 16
		.amdhsa_next_free_sgpr 12
		.amdhsa_reserve_vcc 1
		.amdhsa_reserve_flat_scratch 0
		.amdhsa_float_round_mode_32 0
		.amdhsa_float_round_mode_16_64 0
		.amdhsa_float_denorm_mode_32 3
		.amdhsa_float_denorm_mode_16_64 3
		.amdhsa_dx10_clamp 1
		.amdhsa_ieee_mode 1
		.amdhsa_fp16_overflow 0
		.amdhsa_exception_fp_ieee_invalid_op 0
		.amdhsa_exception_fp_denorm_src 0
		.amdhsa_exception_fp_ieee_div_zero 0
		.amdhsa_exception_fp_ieee_overflow 0
		.amdhsa_exception_fp_ieee_underflow 0
		.amdhsa_exception_fp_ieee_inexact 0
		.amdhsa_exception_int_div_zero 0
	.end_amdhsa_kernel
	.section	.text._Z28segmented_warp_reduce_kernelIfhLj61ELj100EENSt9enable_ifIXsr15benchmark_utilsE35device_test_enabled_for_warp_size_vIXT1_EEEvE4typeEPKT_PT0_PS3_,"axG",@progbits,_Z28segmented_warp_reduce_kernelIfhLj61ELj100EENSt9enable_ifIXsr15benchmark_utilsE35device_test_enabled_for_warp_size_vIXT1_EEEvE4typeEPKT_PT0_PS3_,comdat
.Lfunc_end47:
	.size	_Z28segmented_warp_reduce_kernelIfhLj61ELj100EENSt9enable_ifIXsr15benchmark_utilsE35device_test_enabled_for_warp_size_vIXT1_EEEvE4typeEPKT_PT0_PS3_, .Lfunc_end47-_Z28segmented_warp_reduce_kernelIfhLj61ELj100EENSt9enable_ifIXsr15benchmark_utilsE35device_test_enabled_for_warp_size_vIXT1_EEEvE4typeEPKT_PT0_PS3_
                                        ; -- End function
	.set _Z28segmented_warp_reduce_kernelIfhLj61ELj100EENSt9enable_ifIXsr15benchmark_utilsE35device_test_enabled_for_warp_size_vIXT1_EEEvE4typeEPKT_PT0_PS3_.num_vgpr, 16
	.set _Z28segmented_warp_reduce_kernelIfhLj61ELj100EENSt9enable_ifIXsr15benchmark_utilsE35device_test_enabled_for_warp_size_vIXT1_EEEvE4typeEPKT_PT0_PS3_.num_agpr, 0
	.set _Z28segmented_warp_reduce_kernelIfhLj61ELj100EENSt9enable_ifIXsr15benchmark_utilsE35device_test_enabled_for_warp_size_vIXT1_EEEvE4typeEPKT_PT0_PS3_.numbered_sgpr, 12
	.set _Z28segmented_warp_reduce_kernelIfhLj61ELj100EENSt9enable_ifIXsr15benchmark_utilsE35device_test_enabled_for_warp_size_vIXT1_EEEvE4typeEPKT_PT0_PS3_.num_named_barrier, 0
	.set _Z28segmented_warp_reduce_kernelIfhLj61ELj100EENSt9enable_ifIXsr15benchmark_utilsE35device_test_enabled_for_warp_size_vIXT1_EEEvE4typeEPKT_PT0_PS3_.private_seg_size, 0
	.set _Z28segmented_warp_reduce_kernelIfhLj61ELj100EENSt9enable_ifIXsr15benchmark_utilsE35device_test_enabled_for_warp_size_vIXT1_EEEvE4typeEPKT_PT0_PS3_.uses_vcc, 1
	.set _Z28segmented_warp_reduce_kernelIfhLj61ELj100EENSt9enable_ifIXsr15benchmark_utilsE35device_test_enabled_for_warp_size_vIXT1_EEEvE4typeEPKT_PT0_PS3_.uses_flat_scratch, 0
	.set _Z28segmented_warp_reduce_kernelIfhLj61ELj100EENSt9enable_ifIXsr15benchmark_utilsE35device_test_enabled_for_warp_size_vIXT1_EEEvE4typeEPKT_PT0_PS3_.has_dyn_sized_stack, 0
	.set _Z28segmented_warp_reduce_kernelIfhLj61ELj100EENSt9enable_ifIXsr15benchmark_utilsE35device_test_enabled_for_warp_size_vIXT1_EEEvE4typeEPKT_PT0_PS3_.has_recursion, 0
	.set _Z28segmented_warp_reduce_kernelIfhLj61ELj100EENSt9enable_ifIXsr15benchmark_utilsE35device_test_enabled_for_warp_size_vIXT1_EEEvE4typeEPKT_PT0_PS3_.has_indirect_call, 0
	.section	.AMDGPU.csdata,"",@progbits
; Kernel info:
; codeLenInByte = 512
; TotalNumSgprs: 16
; NumVgprs: 16
; ScratchSize: 0
; MemoryBound: 0
; FloatMode: 240
; IeeeMode: 1
; LDSByteSize: 244 bytes/workgroup (compile time only)
; SGPRBlocks: 1
; VGPRBlocks: 3
; NumSGPRsForWavesPerEU: 16
; NumVGPRsForWavesPerEU: 16
; Occupancy: 10
; WaveLimiterHint : 0
; COMPUTE_PGM_RSRC2:SCRATCH_EN: 0
; COMPUTE_PGM_RSRC2:USER_SGPR: 6
; COMPUTE_PGM_RSRC2:TRAP_HANDLER: 0
; COMPUTE_PGM_RSRC2:TGID_X_EN: 1
; COMPUTE_PGM_RSRC2:TGID_Y_EN: 0
; COMPUTE_PGM_RSRC2:TGID_Z_EN: 0
; COMPUTE_PGM_RSRC2:TIDIG_COMP_CNT: 0
	.section	.text._Z28segmented_warp_reduce_kernelIfhLj64ELj100EENSt9enable_ifIXsr15benchmark_utilsE35device_test_enabled_for_warp_size_vIXT1_EEEvE4typeEPKT_PT0_PS3_,"axG",@progbits,_Z28segmented_warp_reduce_kernelIfhLj64ELj100EENSt9enable_ifIXsr15benchmark_utilsE35device_test_enabled_for_warp_size_vIXT1_EEEvE4typeEPKT_PT0_PS3_,comdat
	.protected	_Z28segmented_warp_reduce_kernelIfhLj64ELj100EENSt9enable_ifIXsr15benchmark_utilsE35device_test_enabled_for_warp_size_vIXT1_EEEvE4typeEPKT_PT0_PS3_ ; -- Begin function _Z28segmented_warp_reduce_kernelIfhLj64ELj100EENSt9enable_ifIXsr15benchmark_utilsE35device_test_enabled_for_warp_size_vIXT1_EEEvE4typeEPKT_PT0_PS3_
	.globl	_Z28segmented_warp_reduce_kernelIfhLj64ELj100EENSt9enable_ifIXsr15benchmark_utilsE35device_test_enabled_for_warp_size_vIXT1_EEEvE4typeEPKT_PT0_PS3_
	.p2align	8
	.type	_Z28segmented_warp_reduce_kernelIfhLj64ELj100EENSt9enable_ifIXsr15benchmark_utilsE35device_test_enabled_for_warp_size_vIXT1_EEEvE4typeEPKT_PT0_PS3_,@function
_Z28segmented_warp_reduce_kernelIfhLj64ELj100EENSt9enable_ifIXsr15benchmark_utilsE35device_test_enabled_for_warp_size_vIXT1_EEEvE4typeEPKT_PT0_PS3_: ; @_Z28segmented_warp_reduce_kernelIfhLj64ELj100EENSt9enable_ifIXsr15benchmark_utilsE35device_test_enabled_for_warp_size_vIXT1_EEEvE4typeEPKT_PT0_PS3_
; %bb.0:
	s_load_dword s0, s[4:5], 0x24
	s_load_dwordx4 s[8:11], s[4:5], 0x0
	s_load_dwordx2 s[2:3], s[4:5], 0x10
	v_mov_b32_e32 v3, 0
	v_mov_b32_e32 v16, 0x80
	s_waitcnt lgkmcnt(0)
	s_and_b32 s0, s0, 0xffff
	s_mul_i32 s6, s6, s0
	v_add_u32_e32 v2, s6, v0
	v_lshlrev_b64 v[0:1], 2, v[2:3]
	v_mov_b32_e32 v3, s9
	global_load_ubyte v15, v2, s[10:11]
	v_add_co_u32_e32 v2, vcc, s8, v0
	v_addc_co_u32_e32 v3, vcc, v3, v1, vcc
	global_load_dword v4, v[2:3], off
	v_mbcnt_lo_u32_b32 v2, -1, 0
	v_mbcnt_hi_u32_b32 v17, -1, v2
	v_and_b32_e32 v10, 63, v17
	v_cmp_ne_u32_e32 vcc, 63, v10
	v_addc_co_u32_e32 v11, vcc, 0, v17, vcc
	v_cmp_gt_u32_e32 vcc, 62, v10
	v_cndmask_b32_e64 v12, 0, 2, vcc
	v_cmp_gt_u32_e32 vcc, 60, v10
	v_cndmask_b32_e64 v13, 0, 4, vcc
	;; [unrolled: 2-line block ×3, first 2 shown]
	v_cmp_gt_u32_e32 vcc, 48, v10
	v_lshlrev_b64 v[2:3], v17, -1
	v_cndmask_b32_e64 v18, 0, 16, vcc
	v_add_u32_e32 v5, 1, v17
	v_add_u32_e32 v6, 2, v17
	;; [unrolled: 1-line block ×5, first 2 shown]
	v_lshlrev_b32_e32 v10, 2, v11
	v_add_lshl_u32 v11, v12, v17, 2
	v_add_lshl_u32 v12, v13, v17, 2
	;; [unrolled: 1-line block ×4, first 2 shown]
	s_movk_i32 s4, 0x64
	s_waitcnt vmcnt(1)
	v_cmp_ne_u16_e32 vcc, 0, v15
	v_lshl_or_b32 v15, v17, 2, v16
	v_add_u32_e32 v16, 32, v17
.LBB48_1:                               ; =>This Inner Loop Header: Depth=1
	v_cndmask_b32_e64 v17, 0, 1, vcc
	v_cmp_ne_u32_e64 s[0:1], 0, v17
	s_lshr_b64 s[0:1], s[0:1], 1
	s_waitcnt vmcnt(0)
	ds_bpermute_b32 v18, v10, v4
	v_and_b32_e32 v17, s1, v3
	v_or_b32_e32 v17, 0x80000000, v17
	v_and_b32_e32 v19, s0, v2
	v_ffbl_b32_e32 v17, v17
	v_ffbl_b32_e32 v19, v19
	v_add_u32_e32 v17, 32, v17
	v_min_u32_e32 v17, v19, v17
	s_waitcnt lgkmcnt(0)
	v_add_f32_e32 v18, v4, v18
	v_cmp_gt_u32_e64 s[0:1], v5, v17
	v_cndmask_b32_e64 v4, v18, v4, s[0:1]
	ds_bpermute_b32 v18, v11, v4
	v_cmp_gt_u32_e64 s[0:1], v6, v17
	s_add_i32 s4, s4, -1
	s_cmp_eq_u32 s4, 0
	s_waitcnt lgkmcnt(0)
	v_add_f32_e32 v18, v4, v18
	v_cndmask_b32_e64 v4, v18, v4, s[0:1]
	ds_bpermute_b32 v18, v12, v4
	v_cmp_gt_u32_e64 s[0:1], v7, v17
	s_waitcnt lgkmcnt(0)
	v_add_f32_e32 v18, v4, v18
	v_cndmask_b32_e64 v4, v18, v4, s[0:1]
	ds_bpermute_b32 v18, v13, v4
	v_cmp_gt_u32_e64 s[0:1], v8, v17
	;; [unrolled: 5-line block ×4, first 2 shown]
	s_waitcnt lgkmcnt(0)
	v_add_f32_e32 v18, v4, v18
	v_cndmask_b32_e64 v4, v18, v4, s[0:1]
	s_cbranch_scc0 .LBB48_1
; %bb.2:
	v_mov_b32_e32 v2, s3
	v_add_co_u32_e32 v0, vcc, s2, v0
	v_addc_co_u32_e32 v1, vcc, v2, v1, vcc
	global_store_dword v[0:1], v4, off
	s_endpgm
	.section	.rodata,"a",@progbits
	.p2align	6, 0x0
	.amdhsa_kernel _Z28segmented_warp_reduce_kernelIfhLj64ELj100EENSt9enable_ifIXsr15benchmark_utilsE35device_test_enabled_for_warp_size_vIXT1_EEEvE4typeEPKT_PT0_PS3_
		.amdhsa_group_segment_fixed_size 0
		.amdhsa_private_segment_fixed_size 0
		.amdhsa_kernarg_size 280
		.amdhsa_user_sgpr_count 6
		.amdhsa_user_sgpr_private_segment_buffer 1
		.amdhsa_user_sgpr_dispatch_ptr 0
		.amdhsa_user_sgpr_queue_ptr 0
		.amdhsa_user_sgpr_kernarg_segment_ptr 1
		.amdhsa_user_sgpr_dispatch_id 0
		.amdhsa_user_sgpr_flat_scratch_init 0
		.amdhsa_user_sgpr_private_segment_size 0
		.amdhsa_uses_dynamic_stack 0
		.amdhsa_system_sgpr_private_segment_wavefront_offset 0
		.amdhsa_system_sgpr_workgroup_id_x 1
		.amdhsa_system_sgpr_workgroup_id_y 0
		.amdhsa_system_sgpr_workgroup_id_z 0
		.amdhsa_system_sgpr_workgroup_info 0
		.amdhsa_system_vgpr_workitem_id 0
		.amdhsa_next_free_vgpr 20
		.amdhsa_next_free_sgpr 12
		.amdhsa_reserve_vcc 1
		.amdhsa_reserve_flat_scratch 0
		.amdhsa_float_round_mode_32 0
		.amdhsa_float_round_mode_16_64 0
		.amdhsa_float_denorm_mode_32 3
		.amdhsa_float_denorm_mode_16_64 3
		.amdhsa_dx10_clamp 1
		.amdhsa_ieee_mode 1
		.amdhsa_fp16_overflow 0
		.amdhsa_exception_fp_ieee_invalid_op 0
		.amdhsa_exception_fp_denorm_src 0
		.amdhsa_exception_fp_ieee_div_zero 0
		.amdhsa_exception_fp_ieee_overflow 0
		.amdhsa_exception_fp_ieee_underflow 0
		.amdhsa_exception_fp_ieee_inexact 0
		.amdhsa_exception_int_div_zero 0
	.end_amdhsa_kernel
	.section	.text._Z28segmented_warp_reduce_kernelIfhLj64ELj100EENSt9enable_ifIXsr15benchmark_utilsE35device_test_enabled_for_warp_size_vIXT1_EEEvE4typeEPKT_PT0_PS3_,"axG",@progbits,_Z28segmented_warp_reduce_kernelIfhLj64ELj100EENSt9enable_ifIXsr15benchmark_utilsE35device_test_enabled_for_warp_size_vIXT1_EEEvE4typeEPKT_PT0_PS3_,comdat
.Lfunc_end48:
	.size	_Z28segmented_warp_reduce_kernelIfhLj64ELj100EENSt9enable_ifIXsr15benchmark_utilsE35device_test_enabled_for_warp_size_vIXT1_EEEvE4typeEPKT_PT0_PS3_, .Lfunc_end48-_Z28segmented_warp_reduce_kernelIfhLj64ELj100EENSt9enable_ifIXsr15benchmark_utilsE35device_test_enabled_for_warp_size_vIXT1_EEEvE4typeEPKT_PT0_PS3_
                                        ; -- End function
	.set _Z28segmented_warp_reduce_kernelIfhLj64ELj100EENSt9enable_ifIXsr15benchmark_utilsE35device_test_enabled_for_warp_size_vIXT1_EEEvE4typeEPKT_PT0_PS3_.num_vgpr, 20
	.set _Z28segmented_warp_reduce_kernelIfhLj64ELj100EENSt9enable_ifIXsr15benchmark_utilsE35device_test_enabled_for_warp_size_vIXT1_EEEvE4typeEPKT_PT0_PS3_.num_agpr, 0
	.set _Z28segmented_warp_reduce_kernelIfhLj64ELj100EENSt9enable_ifIXsr15benchmark_utilsE35device_test_enabled_for_warp_size_vIXT1_EEEvE4typeEPKT_PT0_PS3_.numbered_sgpr, 12
	.set _Z28segmented_warp_reduce_kernelIfhLj64ELj100EENSt9enable_ifIXsr15benchmark_utilsE35device_test_enabled_for_warp_size_vIXT1_EEEvE4typeEPKT_PT0_PS3_.num_named_barrier, 0
	.set _Z28segmented_warp_reduce_kernelIfhLj64ELj100EENSt9enable_ifIXsr15benchmark_utilsE35device_test_enabled_for_warp_size_vIXT1_EEEvE4typeEPKT_PT0_PS3_.private_seg_size, 0
	.set _Z28segmented_warp_reduce_kernelIfhLj64ELj100EENSt9enable_ifIXsr15benchmark_utilsE35device_test_enabled_for_warp_size_vIXT1_EEEvE4typeEPKT_PT0_PS3_.uses_vcc, 1
	.set _Z28segmented_warp_reduce_kernelIfhLj64ELj100EENSt9enable_ifIXsr15benchmark_utilsE35device_test_enabled_for_warp_size_vIXT1_EEEvE4typeEPKT_PT0_PS3_.uses_flat_scratch, 0
	.set _Z28segmented_warp_reduce_kernelIfhLj64ELj100EENSt9enable_ifIXsr15benchmark_utilsE35device_test_enabled_for_warp_size_vIXT1_EEEvE4typeEPKT_PT0_PS3_.has_dyn_sized_stack, 0
	.set _Z28segmented_warp_reduce_kernelIfhLj64ELj100EENSt9enable_ifIXsr15benchmark_utilsE35device_test_enabled_for_warp_size_vIXT1_EEEvE4typeEPKT_PT0_PS3_.has_recursion, 0
	.set _Z28segmented_warp_reduce_kernelIfhLj64ELj100EENSt9enable_ifIXsr15benchmark_utilsE35device_test_enabled_for_warp_size_vIXT1_EEEvE4typeEPKT_PT0_PS3_.has_indirect_call, 0
	.section	.AMDGPU.csdata,"",@progbits
; Kernel info:
; codeLenInByte = 540
; TotalNumSgprs: 16
; NumVgprs: 20
; ScratchSize: 0
; MemoryBound: 0
; FloatMode: 240
; IeeeMode: 1
; LDSByteSize: 0 bytes/workgroup (compile time only)
; SGPRBlocks: 1
; VGPRBlocks: 4
; NumSGPRsForWavesPerEU: 16
; NumVGPRsForWavesPerEU: 20
; Occupancy: 10
; WaveLimiterHint : 0
; COMPUTE_PGM_RSRC2:SCRATCH_EN: 0
; COMPUTE_PGM_RSRC2:USER_SGPR: 6
; COMPUTE_PGM_RSRC2:TRAP_HANDLER: 0
; COMPUTE_PGM_RSRC2:TGID_X_EN: 1
; COMPUTE_PGM_RSRC2:TGID_Y_EN: 0
; COMPUTE_PGM_RSRC2:TGID_Z_EN: 0
; COMPUTE_PGM_RSRC2:TIDIG_COMP_CNT: 0
	.section	.text._Z28segmented_warp_reduce_kernelIdhLj15ELj100EENSt9enable_ifIXsr15benchmark_utilsE35device_test_enabled_for_warp_size_vIXT1_EEEvE4typeEPKT_PT0_PS3_,"axG",@progbits,_Z28segmented_warp_reduce_kernelIdhLj15ELj100EENSt9enable_ifIXsr15benchmark_utilsE35device_test_enabled_for_warp_size_vIXT1_EEEvE4typeEPKT_PT0_PS3_,comdat
	.protected	_Z28segmented_warp_reduce_kernelIdhLj15ELj100EENSt9enable_ifIXsr15benchmark_utilsE35device_test_enabled_for_warp_size_vIXT1_EEEvE4typeEPKT_PT0_PS3_ ; -- Begin function _Z28segmented_warp_reduce_kernelIdhLj15ELj100EENSt9enable_ifIXsr15benchmark_utilsE35device_test_enabled_for_warp_size_vIXT1_EEEvE4typeEPKT_PT0_PS3_
	.globl	_Z28segmented_warp_reduce_kernelIdhLj15ELj100EENSt9enable_ifIXsr15benchmark_utilsE35device_test_enabled_for_warp_size_vIXT1_EEEvE4typeEPKT_PT0_PS3_
	.p2align	8
	.type	_Z28segmented_warp_reduce_kernelIdhLj15ELj100EENSt9enable_ifIXsr15benchmark_utilsE35device_test_enabled_for_warp_size_vIXT1_EEEvE4typeEPKT_PT0_PS3_,@function
_Z28segmented_warp_reduce_kernelIdhLj15ELj100EENSt9enable_ifIXsr15benchmark_utilsE35device_test_enabled_for_warp_size_vIXT1_EEEvE4typeEPKT_PT0_PS3_: ; @_Z28segmented_warp_reduce_kernelIdhLj15ELj100EENSt9enable_ifIXsr15benchmark_utilsE35device_test_enabled_for_warp_size_vIXT1_EEEvE4typeEPKT_PT0_PS3_
; %bb.0:
	s_load_dword s2, s[4:5], 0x24
	s_load_dwordx4 s[8:11], s[4:5], 0x0
	s_load_dwordx2 s[0:1], s[4:5], 0x10
	v_mov_b32_e32 v3, 0
	v_mbcnt_lo_u32_b32 v4, -1, 0
	s_waitcnt lgkmcnt(0)
	s_and_b32 s2, s2, 0xffff
	s_mul_i32 s6, s6, s2
	v_add_u32_e32 v2, s6, v0
	v_lshlrev_b64 v[0:1], 3, v[2:3]
	v_mov_b32_e32 v3, s9
	global_load_ubyte v12, v2, s[10:11]
	v_add_co_u32_e32 v2, vcc, s8, v0
	v_addc_co_u32_e32 v3, vcc, v3, v1, vcc
	global_load_dwordx2 v[2:3], v[2:3], off
	v_mbcnt_hi_u32_b32 v4, -1, v4
	s_mov_b32 s2, 0x11111112
	v_mul_hi_u32 v5, v4, s2
	s_movk_i32 s4, 0x64
	v_mul_u32_u24_e32 v6, 15, v5
	v_sub_u32_e32 v7, v4, v6
	v_lshlrev_b64 v[4:5], v4, -1
	v_lshlrev_b32_e32 v8, 3, v7
	v_add_u32_e32 v9, 2, v7
	v_add_u32_e32 v10, 4, v7
	;; [unrolled: 1-line block ×3, first 2 shown]
	s_waitcnt vmcnt(1)
	v_cmp_ne_u16_e32 vcc, 0, v12
	v_cndmask_b32_e64 v12, 0, 1, vcc
	s_branch .LBB49_2
.LBB49_1:                               ;   in Loop: Header=BB49_2 Depth=1
	s_or_b64 exec, exec, s[2:3]
	s_add_i32 s4, s4, -1
	s_cmp_eq_u32 s4, 0
	; wave barrier
	s_cbranch_scc1 .LBB49_10
.LBB49_2:                               ; =>This Inner Loop Header: Depth=1
	v_cmp_ne_u32_e32 vcc, 0, v12
	s_lshr_b64 s[2:3], vcc, 1
	v_and_b32_e32 v14, s3, v5
	v_and_b32_e32 v13, s2, v4
	v_lshrrev_b64 v[13:14], v6, v[13:14]
	s_waitcnt vmcnt(0)
	ds_write_b64 v8, v[2:3]
	v_or_b32_e32 v13, 0x4000, v13
	v_ffbl_b32_e32 v14, v14
	v_add_u32_e32 v14, 32, v14
	v_ffbl_b32_e32 v13, v13
	v_min_u32_e32 v13, v13, v14
	v_cmp_lt_u32_e32 vcc, v7, v13
	; wave barrier
	s_and_saveexec_b64 s[2:3], vcc
	s_cbranch_execz .LBB49_4
; %bb.3:                                ;   in Loop: Header=BB49_2 Depth=1
	ds_read_b64 v[14:15], v8 offset:8
	s_waitcnt lgkmcnt(0)
	v_add_f64 v[2:3], v[2:3], v[14:15]
.LBB49_4:                               ;   in Loop: Header=BB49_2 Depth=1
	s_or_b64 exec, exec, s[2:3]
	v_cmp_le_u32_e32 vcc, v9, v13
	; wave barrier
	ds_write_b64 v8, v[2:3]
	; wave barrier
	s_and_saveexec_b64 s[2:3], vcc
	s_cbranch_execz .LBB49_6
; %bb.5:                                ;   in Loop: Header=BB49_2 Depth=1
	ds_read_b64 v[14:15], v8 offset:16
	s_waitcnt lgkmcnt(0)
	v_add_f64 v[2:3], v[2:3], v[14:15]
.LBB49_6:                               ;   in Loop: Header=BB49_2 Depth=1
	s_or_b64 exec, exec, s[2:3]
	v_cmp_le_u32_e32 vcc, v10, v13
	; wave barrier
	ds_write_b64 v8, v[2:3]
	;; [unrolled: 12-line block ×3, first 2 shown]
	; wave barrier
	s_and_saveexec_b64 s[2:3], vcc
	s_cbranch_execz .LBB49_1
; %bb.9:                                ;   in Loop: Header=BB49_2 Depth=1
	ds_read_b64 v[13:14], v8 offset:64
	s_waitcnt lgkmcnt(0)
	v_add_f64 v[2:3], v[2:3], v[13:14]
	s_branch .LBB49_1
.LBB49_10:
	v_mov_b32_e32 v4, s1
	v_add_co_u32_e32 v0, vcc, s0, v0
	v_addc_co_u32_e32 v1, vcc, v4, v1, vcc
	global_store_dwordx2 v[0:1], v[2:3], off
	s_endpgm
	.section	.rodata,"a",@progbits
	.p2align	6, 0x0
	.amdhsa_kernel _Z28segmented_warp_reduce_kernelIdhLj15ELj100EENSt9enable_ifIXsr15benchmark_utilsE35device_test_enabled_for_warp_size_vIXT1_EEEvE4typeEPKT_PT0_PS3_
		.amdhsa_group_segment_fixed_size 120
		.amdhsa_private_segment_fixed_size 0
		.amdhsa_kernarg_size 280
		.amdhsa_user_sgpr_count 6
		.amdhsa_user_sgpr_private_segment_buffer 1
		.amdhsa_user_sgpr_dispatch_ptr 0
		.amdhsa_user_sgpr_queue_ptr 0
		.amdhsa_user_sgpr_kernarg_segment_ptr 1
		.amdhsa_user_sgpr_dispatch_id 0
		.amdhsa_user_sgpr_flat_scratch_init 0
		.amdhsa_user_sgpr_private_segment_size 0
		.amdhsa_uses_dynamic_stack 0
		.amdhsa_system_sgpr_private_segment_wavefront_offset 0
		.amdhsa_system_sgpr_workgroup_id_x 1
		.amdhsa_system_sgpr_workgroup_id_y 0
		.amdhsa_system_sgpr_workgroup_id_z 0
		.amdhsa_system_sgpr_workgroup_info 0
		.amdhsa_system_vgpr_workitem_id 0
		.amdhsa_next_free_vgpr 16
		.amdhsa_next_free_sgpr 12
		.amdhsa_reserve_vcc 1
		.amdhsa_reserve_flat_scratch 0
		.amdhsa_float_round_mode_32 0
		.amdhsa_float_round_mode_16_64 0
		.amdhsa_float_denorm_mode_32 3
		.amdhsa_float_denorm_mode_16_64 3
		.amdhsa_dx10_clamp 1
		.amdhsa_ieee_mode 1
		.amdhsa_fp16_overflow 0
		.amdhsa_exception_fp_ieee_invalid_op 0
		.amdhsa_exception_fp_denorm_src 0
		.amdhsa_exception_fp_ieee_div_zero 0
		.amdhsa_exception_fp_ieee_overflow 0
		.amdhsa_exception_fp_ieee_underflow 0
		.amdhsa_exception_fp_ieee_inexact 0
		.amdhsa_exception_int_div_zero 0
	.end_amdhsa_kernel
	.section	.text._Z28segmented_warp_reduce_kernelIdhLj15ELj100EENSt9enable_ifIXsr15benchmark_utilsE35device_test_enabled_for_warp_size_vIXT1_EEEvE4typeEPKT_PT0_PS3_,"axG",@progbits,_Z28segmented_warp_reduce_kernelIdhLj15ELj100EENSt9enable_ifIXsr15benchmark_utilsE35device_test_enabled_for_warp_size_vIXT1_EEEvE4typeEPKT_PT0_PS3_,comdat
.Lfunc_end49:
	.size	_Z28segmented_warp_reduce_kernelIdhLj15ELj100EENSt9enable_ifIXsr15benchmark_utilsE35device_test_enabled_for_warp_size_vIXT1_EEEvE4typeEPKT_PT0_PS3_, .Lfunc_end49-_Z28segmented_warp_reduce_kernelIdhLj15ELj100EENSt9enable_ifIXsr15benchmark_utilsE35device_test_enabled_for_warp_size_vIXT1_EEEvE4typeEPKT_PT0_PS3_
                                        ; -- End function
	.set _Z28segmented_warp_reduce_kernelIdhLj15ELj100EENSt9enable_ifIXsr15benchmark_utilsE35device_test_enabled_for_warp_size_vIXT1_EEEvE4typeEPKT_PT0_PS3_.num_vgpr, 16
	.set _Z28segmented_warp_reduce_kernelIdhLj15ELj100EENSt9enable_ifIXsr15benchmark_utilsE35device_test_enabled_for_warp_size_vIXT1_EEEvE4typeEPKT_PT0_PS3_.num_agpr, 0
	.set _Z28segmented_warp_reduce_kernelIdhLj15ELj100EENSt9enable_ifIXsr15benchmark_utilsE35device_test_enabled_for_warp_size_vIXT1_EEEvE4typeEPKT_PT0_PS3_.numbered_sgpr, 12
	.set _Z28segmented_warp_reduce_kernelIdhLj15ELj100EENSt9enable_ifIXsr15benchmark_utilsE35device_test_enabled_for_warp_size_vIXT1_EEEvE4typeEPKT_PT0_PS3_.num_named_barrier, 0
	.set _Z28segmented_warp_reduce_kernelIdhLj15ELj100EENSt9enable_ifIXsr15benchmark_utilsE35device_test_enabled_for_warp_size_vIXT1_EEEvE4typeEPKT_PT0_PS3_.private_seg_size, 0
	.set _Z28segmented_warp_reduce_kernelIdhLj15ELj100EENSt9enable_ifIXsr15benchmark_utilsE35device_test_enabled_for_warp_size_vIXT1_EEEvE4typeEPKT_PT0_PS3_.uses_vcc, 1
	.set _Z28segmented_warp_reduce_kernelIdhLj15ELj100EENSt9enable_ifIXsr15benchmark_utilsE35device_test_enabled_for_warp_size_vIXT1_EEEvE4typeEPKT_PT0_PS3_.uses_flat_scratch, 0
	.set _Z28segmented_warp_reduce_kernelIdhLj15ELj100EENSt9enable_ifIXsr15benchmark_utilsE35device_test_enabled_for_warp_size_vIXT1_EEEvE4typeEPKT_PT0_PS3_.has_dyn_sized_stack, 0
	.set _Z28segmented_warp_reduce_kernelIdhLj15ELj100EENSt9enable_ifIXsr15benchmark_utilsE35device_test_enabled_for_warp_size_vIXT1_EEEvE4typeEPKT_PT0_PS3_.has_recursion, 0
	.set _Z28segmented_warp_reduce_kernelIdhLj15ELj100EENSt9enable_ifIXsr15benchmark_utilsE35device_test_enabled_for_warp_size_vIXT1_EEEvE4typeEPKT_PT0_PS3_.has_indirect_call, 0
	.section	.AMDGPU.csdata,"",@progbits
; Kernel info:
; codeLenInByte = 440
; TotalNumSgprs: 16
; NumVgprs: 16
; ScratchSize: 0
; MemoryBound: 0
; FloatMode: 240
; IeeeMode: 1
; LDSByteSize: 120 bytes/workgroup (compile time only)
; SGPRBlocks: 1
; VGPRBlocks: 3
; NumSGPRsForWavesPerEU: 16
; NumVGPRsForWavesPerEU: 16
; Occupancy: 10
; WaveLimiterHint : 0
; COMPUTE_PGM_RSRC2:SCRATCH_EN: 0
; COMPUTE_PGM_RSRC2:USER_SGPR: 6
; COMPUTE_PGM_RSRC2:TRAP_HANDLER: 0
; COMPUTE_PGM_RSRC2:TGID_X_EN: 1
; COMPUTE_PGM_RSRC2:TGID_Y_EN: 0
; COMPUTE_PGM_RSRC2:TGID_Z_EN: 0
; COMPUTE_PGM_RSRC2:TIDIG_COMP_CNT: 0
	.section	.text._Z28segmented_warp_reduce_kernelIdhLj16ELj100EENSt9enable_ifIXsr15benchmark_utilsE35device_test_enabled_for_warp_size_vIXT1_EEEvE4typeEPKT_PT0_PS3_,"axG",@progbits,_Z28segmented_warp_reduce_kernelIdhLj16ELj100EENSt9enable_ifIXsr15benchmark_utilsE35device_test_enabled_for_warp_size_vIXT1_EEEvE4typeEPKT_PT0_PS3_,comdat
	.protected	_Z28segmented_warp_reduce_kernelIdhLj16ELj100EENSt9enable_ifIXsr15benchmark_utilsE35device_test_enabled_for_warp_size_vIXT1_EEEvE4typeEPKT_PT0_PS3_ ; -- Begin function _Z28segmented_warp_reduce_kernelIdhLj16ELj100EENSt9enable_ifIXsr15benchmark_utilsE35device_test_enabled_for_warp_size_vIXT1_EEEvE4typeEPKT_PT0_PS3_
	.globl	_Z28segmented_warp_reduce_kernelIdhLj16ELj100EENSt9enable_ifIXsr15benchmark_utilsE35device_test_enabled_for_warp_size_vIXT1_EEEvE4typeEPKT_PT0_PS3_
	.p2align	8
	.type	_Z28segmented_warp_reduce_kernelIdhLj16ELj100EENSt9enable_ifIXsr15benchmark_utilsE35device_test_enabled_for_warp_size_vIXT1_EEEvE4typeEPKT_PT0_PS3_,@function
_Z28segmented_warp_reduce_kernelIdhLj16ELj100EENSt9enable_ifIXsr15benchmark_utilsE35device_test_enabled_for_warp_size_vIXT1_EEEvE4typeEPKT_PT0_PS3_: ; @_Z28segmented_warp_reduce_kernelIdhLj16ELj100EENSt9enable_ifIXsr15benchmark_utilsE35device_test_enabled_for_warp_size_vIXT1_EEEvE4typeEPKT_PT0_PS3_
; %bb.0:
	s_load_dword s2, s[4:5], 0x24
	s_load_dwordx4 s[8:11], s[4:5], 0x0
	s_load_dwordx2 s[0:1], s[4:5], 0x10
	v_mov_b32_e32 v3, 0
	v_mbcnt_lo_u32_b32 v4, -1, 0
	s_waitcnt lgkmcnt(0)
	s_and_b32 s2, s2, 0xffff
	s_mul_i32 s6, s6, s2
	v_add_u32_e32 v2, s6, v0
	v_lshlrev_b64 v[0:1], 3, v[2:3]
	v_mov_b32_e32 v3, s9
	global_load_ubyte v6, v2, s[10:11]
	v_add_co_u32_e32 v2, vcc, s8, v0
	v_addc_co_u32_e32 v3, vcc, v3, v1, vcc
	global_load_dwordx2 v[2:3], v[2:3], off
	v_mbcnt_hi_u32_b32 v7, -1, v4
	v_and_b32_e32 v9, 15, v7
	v_cmp_ne_u32_e32 vcc, 15, v9
	v_addc_co_u32_e32 v10, vcc, 0, v7, vcc
	v_cmp_gt_u32_e32 vcc, 14, v9
	v_cndmask_b32_e64 v12, 0, 2, vcc
	v_cmp_gt_u32_e32 vcc, 12, v9
	v_lshlrev_b64 v[4:5], v7, -1
	v_cndmask_b32_e64 v14, 0, 4, vcc
	v_and_b32_e32 v8, 0x70, v7
	v_lshlrev_b32_e32 v10, 2, v10
	v_add_u32_e32 v11, 2, v9
	v_add_lshl_u32 v12, v12, v7, 2
	v_add_u32_e32 v13, 4, v9
	v_add_lshl_u32 v14, v14, v7, 2
	v_add_u32_e32 v15, 8, v9
	v_lshl_or_b32 v16, v7, 2, 32
	s_movk_i32 s4, 0x64
	s_waitcnt vmcnt(1)
	v_cmp_ne_u16_e32 vcc, 0, v6
	v_cndmask_b32_e64 v17, 0, 1, vcc
	s_branch .LBB50_2
.LBB50_1:                               ;   in Loop: Header=BB50_2 Depth=1
	s_or_b64 exec, exec, s[2:3]
	s_waitcnt lgkmcnt(1)
	ds_bpermute_b32 v6, v16, v2
	s_waitcnt lgkmcnt(1)
	ds_bpermute_b32 v7, v16, v3
	s_add_i32 s4, s4, -1
	v_cmp_gt_u32_e32 vcc, v15, v18
	s_cmp_eq_u32 s4, 0
	s_waitcnt lgkmcnt(0)
	v_add_f64 v[6:7], v[2:3], v[6:7]
	v_cndmask_b32_e32 v3, v7, v3, vcc
	v_cndmask_b32_e32 v2, v6, v2, vcc
	s_cbranch_scc1 .LBB50_8
.LBB50_2:                               ; =>This Inner Loop Header: Depth=1
	v_cmp_ne_u32_e32 vcc, 0, v17
	s_lshr_b64 s[2:3], vcc, 1
	v_and_b32_e32 v7, s3, v5
	v_and_b32_e32 v6, s2, v4
	v_lshrrev_b64 v[6:7], v8, v[6:7]
	v_or_b32_e32 v18, 0x8000, v6
	v_ffbl_b32_e32 v19, v7
	s_waitcnt vmcnt(0)
	ds_bpermute_b32 v6, v10, v2
	ds_bpermute_b32 v7, v10, v3
	v_add_u32_e32 v19, 32, v19
	v_ffbl_b32_e32 v18, v18
	v_min_u32_e32 v18, v18, v19
	v_cmp_lt_u32_e32 vcc, v9, v18
	s_and_saveexec_b64 s[2:3], vcc
	s_cbranch_execz .LBB50_4
; %bb.3:                                ;   in Loop: Header=BB50_2 Depth=1
	s_waitcnt lgkmcnt(0)
	v_add_f64 v[2:3], v[2:3], v[6:7]
.LBB50_4:                               ;   in Loop: Header=BB50_2 Depth=1
	s_or_b64 exec, exec, s[2:3]
	s_waitcnt lgkmcnt(1)
	ds_bpermute_b32 v6, v12, v2
	s_waitcnt lgkmcnt(1)
	ds_bpermute_b32 v7, v12, v3
	v_cmp_le_u32_e32 vcc, v11, v18
	s_and_saveexec_b64 s[2:3], vcc
	s_cbranch_execz .LBB50_6
; %bb.5:                                ;   in Loop: Header=BB50_2 Depth=1
	s_waitcnt lgkmcnt(0)
	v_add_f64 v[2:3], v[2:3], v[6:7]
.LBB50_6:                               ;   in Loop: Header=BB50_2 Depth=1
	s_or_b64 exec, exec, s[2:3]
	s_waitcnt lgkmcnt(1)
	ds_bpermute_b32 v6, v14, v2
	s_waitcnt lgkmcnt(1)
	ds_bpermute_b32 v7, v14, v3
	v_cmp_le_u32_e32 vcc, v13, v18
	s_and_saveexec_b64 s[2:3], vcc
	s_cbranch_execz .LBB50_1
; %bb.7:                                ;   in Loop: Header=BB50_2 Depth=1
	s_waitcnt lgkmcnt(0)
	v_add_f64 v[2:3], v[2:3], v[6:7]
	s_branch .LBB50_1
.LBB50_8:
	v_mov_b32_e32 v4, s1
	v_add_co_u32_e32 v0, vcc, s0, v0
	v_addc_co_u32_e32 v1, vcc, v4, v1, vcc
	global_store_dwordx2 v[0:1], v[2:3], off
	s_endpgm
	.section	.rodata,"a",@progbits
	.p2align	6, 0x0
	.amdhsa_kernel _Z28segmented_warp_reduce_kernelIdhLj16ELj100EENSt9enable_ifIXsr15benchmark_utilsE35device_test_enabled_for_warp_size_vIXT1_EEEvE4typeEPKT_PT0_PS3_
		.amdhsa_group_segment_fixed_size 0
		.amdhsa_private_segment_fixed_size 0
		.amdhsa_kernarg_size 280
		.amdhsa_user_sgpr_count 6
		.amdhsa_user_sgpr_private_segment_buffer 1
		.amdhsa_user_sgpr_dispatch_ptr 0
		.amdhsa_user_sgpr_queue_ptr 0
		.amdhsa_user_sgpr_kernarg_segment_ptr 1
		.amdhsa_user_sgpr_dispatch_id 0
		.amdhsa_user_sgpr_flat_scratch_init 0
		.amdhsa_user_sgpr_private_segment_size 0
		.amdhsa_uses_dynamic_stack 0
		.amdhsa_system_sgpr_private_segment_wavefront_offset 0
		.amdhsa_system_sgpr_workgroup_id_x 1
		.amdhsa_system_sgpr_workgroup_id_y 0
		.amdhsa_system_sgpr_workgroup_id_z 0
		.amdhsa_system_sgpr_workgroup_info 0
		.amdhsa_system_vgpr_workitem_id 0
		.amdhsa_next_free_vgpr 20
		.amdhsa_next_free_sgpr 12
		.amdhsa_reserve_vcc 1
		.amdhsa_reserve_flat_scratch 0
		.amdhsa_float_round_mode_32 0
		.amdhsa_float_round_mode_16_64 0
		.amdhsa_float_denorm_mode_32 3
		.amdhsa_float_denorm_mode_16_64 3
		.amdhsa_dx10_clamp 1
		.amdhsa_ieee_mode 1
		.amdhsa_fp16_overflow 0
		.amdhsa_exception_fp_ieee_invalid_op 0
		.amdhsa_exception_fp_denorm_src 0
		.amdhsa_exception_fp_ieee_div_zero 0
		.amdhsa_exception_fp_ieee_overflow 0
		.amdhsa_exception_fp_ieee_underflow 0
		.amdhsa_exception_fp_ieee_inexact 0
		.amdhsa_exception_int_div_zero 0
	.end_amdhsa_kernel
	.section	.text._Z28segmented_warp_reduce_kernelIdhLj16ELj100EENSt9enable_ifIXsr15benchmark_utilsE35device_test_enabled_for_warp_size_vIXT1_EEEvE4typeEPKT_PT0_PS3_,"axG",@progbits,_Z28segmented_warp_reduce_kernelIdhLj16ELj100EENSt9enable_ifIXsr15benchmark_utilsE35device_test_enabled_for_warp_size_vIXT1_EEEvE4typeEPKT_PT0_PS3_,comdat
.Lfunc_end50:
	.size	_Z28segmented_warp_reduce_kernelIdhLj16ELj100EENSt9enable_ifIXsr15benchmark_utilsE35device_test_enabled_for_warp_size_vIXT1_EEEvE4typeEPKT_PT0_PS3_, .Lfunc_end50-_Z28segmented_warp_reduce_kernelIdhLj16ELj100EENSt9enable_ifIXsr15benchmark_utilsE35device_test_enabled_for_warp_size_vIXT1_EEEvE4typeEPKT_PT0_PS3_
                                        ; -- End function
	.set _Z28segmented_warp_reduce_kernelIdhLj16ELj100EENSt9enable_ifIXsr15benchmark_utilsE35device_test_enabled_for_warp_size_vIXT1_EEEvE4typeEPKT_PT0_PS3_.num_vgpr, 20
	.set _Z28segmented_warp_reduce_kernelIdhLj16ELj100EENSt9enable_ifIXsr15benchmark_utilsE35device_test_enabled_for_warp_size_vIXT1_EEEvE4typeEPKT_PT0_PS3_.num_agpr, 0
	.set _Z28segmented_warp_reduce_kernelIdhLj16ELj100EENSt9enable_ifIXsr15benchmark_utilsE35device_test_enabled_for_warp_size_vIXT1_EEEvE4typeEPKT_PT0_PS3_.numbered_sgpr, 12
	.set _Z28segmented_warp_reduce_kernelIdhLj16ELj100EENSt9enable_ifIXsr15benchmark_utilsE35device_test_enabled_for_warp_size_vIXT1_EEEvE4typeEPKT_PT0_PS3_.num_named_barrier, 0
	.set _Z28segmented_warp_reduce_kernelIdhLj16ELj100EENSt9enable_ifIXsr15benchmark_utilsE35device_test_enabled_for_warp_size_vIXT1_EEEvE4typeEPKT_PT0_PS3_.private_seg_size, 0
	.set _Z28segmented_warp_reduce_kernelIdhLj16ELj100EENSt9enable_ifIXsr15benchmark_utilsE35device_test_enabled_for_warp_size_vIXT1_EEEvE4typeEPKT_PT0_PS3_.uses_vcc, 1
	.set _Z28segmented_warp_reduce_kernelIdhLj16ELj100EENSt9enable_ifIXsr15benchmark_utilsE35device_test_enabled_for_warp_size_vIXT1_EEEvE4typeEPKT_PT0_PS3_.uses_flat_scratch, 0
	.set _Z28segmented_warp_reduce_kernelIdhLj16ELj100EENSt9enable_ifIXsr15benchmark_utilsE35device_test_enabled_for_warp_size_vIXT1_EEEvE4typeEPKT_PT0_PS3_.has_dyn_sized_stack, 0
	.set _Z28segmented_warp_reduce_kernelIdhLj16ELj100EENSt9enable_ifIXsr15benchmark_utilsE35device_test_enabled_for_warp_size_vIXT1_EEEvE4typeEPKT_PT0_PS3_.has_recursion, 0
	.set _Z28segmented_warp_reduce_kernelIdhLj16ELj100EENSt9enable_ifIXsr15benchmark_utilsE35device_test_enabled_for_warp_size_vIXT1_EEEvE4typeEPKT_PT0_PS3_.has_indirect_call, 0
	.section	.AMDGPU.csdata,"",@progbits
; Kernel info:
; codeLenInByte = 504
; TotalNumSgprs: 16
; NumVgprs: 20
; ScratchSize: 0
; MemoryBound: 0
; FloatMode: 240
; IeeeMode: 1
; LDSByteSize: 0 bytes/workgroup (compile time only)
; SGPRBlocks: 1
; VGPRBlocks: 4
; NumSGPRsForWavesPerEU: 16
; NumVGPRsForWavesPerEU: 20
; Occupancy: 10
; WaveLimiterHint : 0
; COMPUTE_PGM_RSRC2:SCRATCH_EN: 0
; COMPUTE_PGM_RSRC2:USER_SGPR: 6
; COMPUTE_PGM_RSRC2:TRAP_HANDLER: 0
; COMPUTE_PGM_RSRC2:TGID_X_EN: 1
; COMPUTE_PGM_RSRC2:TGID_Y_EN: 0
; COMPUTE_PGM_RSRC2:TGID_Z_EN: 0
; COMPUTE_PGM_RSRC2:TIDIG_COMP_CNT: 0
	.section	.text._Z28segmented_warp_reduce_kernelIdhLj31ELj100EENSt9enable_ifIXsr15benchmark_utilsE35device_test_enabled_for_warp_size_vIXT1_EEEvE4typeEPKT_PT0_PS3_,"axG",@progbits,_Z28segmented_warp_reduce_kernelIdhLj31ELj100EENSt9enable_ifIXsr15benchmark_utilsE35device_test_enabled_for_warp_size_vIXT1_EEEvE4typeEPKT_PT0_PS3_,comdat
	.protected	_Z28segmented_warp_reduce_kernelIdhLj31ELj100EENSt9enable_ifIXsr15benchmark_utilsE35device_test_enabled_for_warp_size_vIXT1_EEEvE4typeEPKT_PT0_PS3_ ; -- Begin function _Z28segmented_warp_reduce_kernelIdhLj31ELj100EENSt9enable_ifIXsr15benchmark_utilsE35device_test_enabled_for_warp_size_vIXT1_EEEvE4typeEPKT_PT0_PS3_
	.globl	_Z28segmented_warp_reduce_kernelIdhLj31ELj100EENSt9enable_ifIXsr15benchmark_utilsE35device_test_enabled_for_warp_size_vIXT1_EEEvE4typeEPKT_PT0_PS3_
	.p2align	8
	.type	_Z28segmented_warp_reduce_kernelIdhLj31ELj100EENSt9enable_ifIXsr15benchmark_utilsE35device_test_enabled_for_warp_size_vIXT1_EEEvE4typeEPKT_PT0_PS3_,@function
_Z28segmented_warp_reduce_kernelIdhLj31ELj100EENSt9enable_ifIXsr15benchmark_utilsE35device_test_enabled_for_warp_size_vIXT1_EEEvE4typeEPKT_PT0_PS3_: ; @_Z28segmented_warp_reduce_kernelIdhLj31ELj100EENSt9enable_ifIXsr15benchmark_utilsE35device_test_enabled_for_warp_size_vIXT1_EEEvE4typeEPKT_PT0_PS3_
; %bb.0:
	s_load_dword s2, s[4:5], 0x24
	s_load_dwordx4 s[8:11], s[4:5], 0x0
	s_load_dwordx2 s[0:1], s[4:5], 0x10
	v_mov_b32_e32 v3, 0
	v_mbcnt_lo_u32_b32 v4, -1, 0
	s_waitcnt lgkmcnt(0)
	s_and_b32 s2, s2, 0xffff
	s_mul_i32 s6, s6, s2
	v_add_u32_e32 v2, s6, v0
	v_lshlrev_b64 v[0:1], 3, v[2:3]
	v_mov_b32_e32 v3, s9
	global_load_ubyte v13, v2, s[10:11]
	v_add_co_u32_e32 v2, vcc, s8, v0
	v_addc_co_u32_e32 v3, vcc, v3, v1, vcc
	global_load_dwordx2 v[2:3], v[2:3], off
	v_mbcnt_hi_u32_b32 v4, -1, v4
	s_mov_b32 s2, 0x8421085
	v_mul_hi_u32 v5, v4, s2
	s_movk_i32 s4, 0x64
	v_mul_u32_u24_e32 v6, 31, v5
	v_sub_u32_e32 v7, v4, v6
	v_lshlrev_b64 v[4:5], v4, -1
	v_lshlrev_b32_e32 v8, 3, v7
	v_add_u32_e32 v9, 2, v7
	v_add_u32_e32 v10, 4, v7
	;; [unrolled: 1-line block ×4, first 2 shown]
	s_waitcnt vmcnt(1)
	v_cmp_ne_u16_e32 vcc, 0, v13
	v_cndmask_b32_e64 v13, 0, 1, vcc
	s_branch .LBB51_2
.LBB51_1:                               ;   in Loop: Header=BB51_2 Depth=1
	s_or_b64 exec, exec, s[2:3]
	s_add_i32 s4, s4, -1
	s_cmp_eq_u32 s4, 0
	; wave barrier
	s_cbranch_scc1 .LBB51_12
.LBB51_2:                               ; =>This Inner Loop Header: Depth=1
	v_cmp_ne_u32_e32 vcc, 0, v13
	s_lshr_b64 s[2:3], vcc, 1
	v_and_b32_e32 v15, s3, v5
	v_and_b32_e32 v14, s2, v4
	v_lshrrev_b64 v[14:15], v6, v[14:15]
	s_waitcnt vmcnt(0)
	ds_write_b64 v8, v[2:3]
	v_or_b32_e32 v14, 2.0, v14
	v_ffbl_b32_e32 v15, v15
	v_add_u32_e32 v15, 32, v15
	v_ffbl_b32_e32 v14, v14
	v_min_u32_e32 v14, v14, v15
	v_cmp_lt_u32_e32 vcc, v7, v14
	; wave barrier
	s_and_saveexec_b64 s[2:3], vcc
	s_cbranch_execz .LBB51_4
; %bb.3:                                ;   in Loop: Header=BB51_2 Depth=1
	ds_read_b64 v[15:16], v8 offset:8
	s_waitcnt lgkmcnt(0)
	v_add_f64 v[2:3], v[2:3], v[15:16]
.LBB51_4:                               ;   in Loop: Header=BB51_2 Depth=1
	s_or_b64 exec, exec, s[2:3]
	v_cmp_le_u32_e32 vcc, v9, v14
	; wave barrier
	ds_write_b64 v8, v[2:3]
	; wave barrier
	s_and_saveexec_b64 s[2:3], vcc
	s_cbranch_execz .LBB51_6
; %bb.5:                                ;   in Loop: Header=BB51_2 Depth=1
	ds_read_b64 v[15:16], v8 offset:16
	s_waitcnt lgkmcnt(0)
	v_add_f64 v[2:3], v[2:3], v[15:16]
.LBB51_6:                               ;   in Loop: Header=BB51_2 Depth=1
	s_or_b64 exec, exec, s[2:3]
	v_cmp_le_u32_e32 vcc, v10, v14
	; wave barrier
	ds_write_b64 v8, v[2:3]
	;; [unrolled: 12-line block ×3, first 2 shown]
	; wave barrier
	s_and_saveexec_b64 s[2:3], vcc
	s_cbranch_execz .LBB51_10
; %bb.9:                                ;   in Loop: Header=BB51_2 Depth=1
	ds_read_b64 v[15:16], v8 offset:64
	s_waitcnt lgkmcnt(0)
	v_add_f64 v[2:3], v[2:3], v[15:16]
.LBB51_10:                              ;   in Loop: Header=BB51_2 Depth=1
	s_or_b64 exec, exec, s[2:3]
	v_cmp_le_u32_e32 vcc, v12, v14
	; wave barrier
	ds_write_b64 v8, v[2:3]
	; wave barrier
	s_and_saveexec_b64 s[2:3], vcc
	s_cbranch_execz .LBB51_1
; %bb.11:                               ;   in Loop: Header=BB51_2 Depth=1
	ds_read_b64 v[14:15], v8 offset:128
	s_waitcnt lgkmcnt(0)
	v_add_f64 v[2:3], v[2:3], v[14:15]
	s_branch .LBB51_1
.LBB51_12:
	v_mov_b32_e32 v4, s1
	v_add_co_u32_e32 v0, vcc, s0, v0
	v_addc_co_u32_e32 v1, vcc, v4, v1, vcc
	global_store_dwordx2 v[0:1], v[2:3], off
	s_endpgm
	.section	.rodata,"a",@progbits
	.p2align	6, 0x0
	.amdhsa_kernel _Z28segmented_warp_reduce_kernelIdhLj31ELj100EENSt9enable_ifIXsr15benchmark_utilsE35device_test_enabled_for_warp_size_vIXT1_EEEvE4typeEPKT_PT0_PS3_
		.amdhsa_group_segment_fixed_size 248
		.amdhsa_private_segment_fixed_size 0
		.amdhsa_kernarg_size 280
		.amdhsa_user_sgpr_count 6
		.amdhsa_user_sgpr_private_segment_buffer 1
		.amdhsa_user_sgpr_dispatch_ptr 0
		.amdhsa_user_sgpr_queue_ptr 0
		.amdhsa_user_sgpr_kernarg_segment_ptr 1
		.amdhsa_user_sgpr_dispatch_id 0
		.amdhsa_user_sgpr_flat_scratch_init 0
		.amdhsa_user_sgpr_private_segment_size 0
		.amdhsa_uses_dynamic_stack 0
		.amdhsa_system_sgpr_private_segment_wavefront_offset 0
		.amdhsa_system_sgpr_workgroup_id_x 1
		.amdhsa_system_sgpr_workgroup_id_y 0
		.amdhsa_system_sgpr_workgroup_id_z 0
		.amdhsa_system_sgpr_workgroup_info 0
		.amdhsa_system_vgpr_workitem_id 0
		.amdhsa_next_free_vgpr 17
		.amdhsa_next_free_sgpr 12
		.amdhsa_reserve_vcc 1
		.amdhsa_reserve_flat_scratch 0
		.amdhsa_float_round_mode_32 0
		.amdhsa_float_round_mode_16_64 0
		.amdhsa_float_denorm_mode_32 3
		.amdhsa_float_denorm_mode_16_64 3
		.amdhsa_dx10_clamp 1
		.amdhsa_ieee_mode 1
		.amdhsa_fp16_overflow 0
		.amdhsa_exception_fp_ieee_invalid_op 0
		.amdhsa_exception_fp_denorm_src 0
		.amdhsa_exception_fp_ieee_div_zero 0
		.amdhsa_exception_fp_ieee_overflow 0
		.amdhsa_exception_fp_ieee_underflow 0
		.amdhsa_exception_fp_ieee_inexact 0
		.amdhsa_exception_int_div_zero 0
	.end_amdhsa_kernel
	.section	.text._Z28segmented_warp_reduce_kernelIdhLj31ELj100EENSt9enable_ifIXsr15benchmark_utilsE35device_test_enabled_for_warp_size_vIXT1_EEEvE4typeEPKT_PT0_PS3_,"axG",@progbits,_Z28segmented_warp_reduce_kernelIdhLj31ELj100EENSt9enable_ifIXsr15benchmark_utilsE35device_test_enabled_for_warp_size_vIXT1_EEEvE4typeEPKT_PT0_PS3_,comdat
.Lfunc_end51:
	.size	_Z28segmented_warp_reduce_kernelIdhLj31ELj100EENSt9enable_ifIXsr15benchmark_utilsE35device_test_enabled_for_warp_size_vIXT1_EEEvE4typeEPKT_PT0_PS3_, .Lfunc_end51-_Z28segmented_warp_reduce_kernelIdhLj31ELj100EENSt9enable_ifIXsr15benchmark_utilsE35device_test_enabled_for_warp_size_vIXT1_EEEvE4typeEPKT_PT0_PS3_
                                        ; -- End function
	.set _Z28segmented_warp_reduce_kernelIdhLj31ELj100EENSt9enable_ifIXsr15benchmark_utilsE35device_test_enabled_for_warp_size_vIXT1_EEEvE4typeEPKT_PT0_PS3_.num_vgpr, 17
	.set _Z28segmented_warp_reduce_kernelIdhLj31ELj100EENSt9enable_ifIXsr15benchmark_utilsE35device_test_enabled_for_warp_size_vIXT1_EEEvE4typeEPKT_PT0_PS3_.num_agpr, 0
	.set _Z28segmented_warp_reduce_kernelIdhLj31ELj100EENSt9enable_ifIXsr15benchmark_utilsE35device_test_enabled_for_warp_size_vIXT1_EEEvE4typeEPKT_PT0_PS3_.numbered_sgpr, 12
	.set _Z28segmented_warp_reduce_kernelIdhLj31ELj100EENSt9enable_ifIXsr15benchmark_utilsE35device_test_enabled_for_warp_size_vIXT1_EEEvE4typeEPKT_PT0_PS3_.num_named_barrier, 0
	.set _Z28segmented_warp_reduce_kernelIdhLj31ELj100EENSt9enable_ifIXsr15benchmark_utilsE35device_test_enabled_for_warp_size_vIXT1_EEEvE4typeEPKT_PT0_PS3_.private_seg_size, 0
	.set _Z28segmented_warp_reduce_kernelIdhLj31ELj100EENSt9enable_ifIXsr15benchmark_utilsE35device_test_enabled_for_warp_size_vIXT1_EEEvE4typeEPKT_PT0_PS3_.uses_vcc, 1
	.set _Z28segmented_warp_reduce_kernelIdhLj31ELj100EENSt9enable_ifIXsr15benchmark_utilsE35device_test_enabled_for_warp_size_vIXT1_EEEvE4typeEPKT_PT0_PS3_.uses_flat_scratch, 0
	.set _Z28segmented_warp_reduce_kernelIdhLj31ELj100EENSt9enable_ifIXsr15benchmark_utilsE35device_test_enabled_for_warp_size_vIXT1_EEEvE4typeEPKT_PT0_PS3_.has_dyn_sized_stack, 0
	.set _Z28segmented_warp_reduce_kernelIdhLj31ELj100EENSt9enable_ifIXsr15benchmark_utilsE35device_test_enabled_for_warp_size_vIXT1_EEEvE4typeEPKT_PT0_PS3_.has_recursion, 0
	.set _Z28segmented_warp_reduce_kernelIdhLj31ELj100EENSt9enable_ifIXsr15benchmark_utilsE35device_test_enabled_for_warp_size_vIXT1_EEEvE4typeEPKT_PT0_PS3_.has_indirect_call, 0
	.section	.AMDGPU.csdata,"",@progbits
; Kernel info:
; codeLenInByte = 484
; TotalNumSgprs: 16
; NumVgprs: 17
; ScratchSize: 0
; MemoryBound: 0
; FloatMode: 240
; IeeeMode: 1
; LDSByteSize: 248 bytes/workgroup (compile time only)
; SGPRBlocks: 1
; VGPRBlocks: 4
; NumSGPRsForWavesPerEU: 16
; NumVGPRsForWavesPerEU: 17
; Occupancy: 10
; WaveLimiterHint : 0
; COMPUTE_PGM_RSRC2:SCRATCH_EN: 0
; COMPUTE_PGM_RSRC2:USER_SGPR: 6
; COMPUTE_PGM_RSRC2:TRAP_HANDLER: 0
; COMPUTE_PGM_RSRC2:TGID_X_EN: 1
; COMPUTE_PGM_RSRC2:TGID_Y_EN: 0
; COMPUTE_PGM_RSRC2:TGID_Z_EN: 0
; COMPUTE_PGM_RSRC2:TIDIG_COMP_CNT: 0
	.section	.text._Z28segmented_warp_reduce_kernelIdhLj32ELj100EENSt9enable_ifIXsr15benchmark_utilsE35device_test_enabled_for_warp_size_vIXT1_EEEvE4typeEPKT_PT0_PS3_,"axG",@progbits,_Z28segmented_warp_reduce_kernelIdhLj32ELj100EENSt9enable_ifIXsr15benchmark_utilsE35device_test_enabled_for_warp_size_vIXT1_EEEvE4typeEPKT_PT0_PS3_,comdat
	.protected	_Z28segmented_warp_reduce_kernelIdhLj32ELj100EENSt9enable_ifIXsr15benchmark_utilsE35device_test_enabled_for_warp_size_vIXT1_EEEvE4typeEPKT_PT0_PS3_ ; -- Begin function _Z28segmented_warp_reduce_kernelIdhLj32ELj100EENSt9enable_ifIXsr15benchmark_utilsE35device_test_enabled_for_warp_size_vIXT1_EEEvE4typeEPKT_PT0_PS3_
	.globl	_Z28segmented_warp_reduce_kernelIdhLj32ELj100EENSt9enable_ifIXsr15benchmark_utilsE35device_test_enabled_for_warp_size_vIXT1_EEEvE4typeEPKT_PT0_PS3_
	.p2align	8
	.type	_Z28segmented_warp_reduce_kernelIdhLj32ELj100EENSt9enable_ifIXsr15benchmark_utilsE35device_test_enabled_for_warp_size_vIXT1_EEEvE4typeEPKT_PT0_PS3_,@function
_Z28segmented_warp_reduce_kernelIdhLj32ELj100EENSt9enable_ifIXsr15benchmark_utilsE35device_test_enabled_for_warp_size_vIXT1_EEEvE4typeEPKT_PT0_PS3_: ; @_Z28segmented_warp_reduce_kernelIdhLj32ELj100EENSt9enable_ifIXsr15benchmark_utilsE35device_test_enabled_for_warp_size_vIXT1_EEEvE4typeEPKT_PT0_PS3_
; %bb.0:
	s_load_dword s0, s[4:5], 0x24
	s_load_dwordx4 s[8:11], s[4:5], 0x0
	s_load_dwordx2 s[2:3], s[4:5], 0x10
	v_mov_b32_e32 v3, 0
	v_mbcnt_lo_u32_b32 v4, -1, 0
	s_waitcnt lgkmcnt(0)
	s_and_b32 s0, s0, 0xffff
	s_mul_i32 s6, s6, s0
	v_add_u32_e32 v2, s6, v0
	v_lshlrev_b64 v[0:1], 3, v[2:3]
	v_mov_b32_e32 v3, s9
	global_load_ubyte v6, v2, s[10:11]
	v_add_co_u32_e32 v2, vcc, s8, v0
	v_addc_co_u32_e32 v3, vcc, v3, v1, vcc
	global_load_dwordx2 v[2:3], v[2:3], off
	v_mbcnt_hi_u32_b32 v7, -1, v4
	v_and_b32_e32 v9, 31, v7
	v_cmp_ne_u32_e32 vcc, 31, v9
	v_addc_co_u32_e32 v13, vcc, 0, v7, vcc
	v_cmp_gt_u32_e32 vcc, 30, v9
	v_cndmask_b32_e64 v14, 0, 2, vcc
	v_cmp_gt_u32_e32 vcc, 28, v9
	v_cndmask_b32_e64 v15, 0, 4, vcc
	v_cmp_gt_u32_e32 vcc, 24, v9
	v_lshlrev_b64 v[4:5], v7, -1
	v_cndmask_b32_e64 v16, 0, 8, vcc
	v_and_b32_e32 v8, 0x60, v7
	v_add_u32_e32 v10, 2, v9
	v_add_u32_e32 v11, 4, v9
	;; [unrolled: 1-line block ×3, first 2 shown]
	v_lshlrev_b32_e32 v13, 2, v13
	v_add_lshl_u32 v14, v14, v7, 2
	v_add_lshl_u32 v15, v15, v7, 2
	;; [unrolled: 1-line block ×3, first 2 shown]
	v_add_u32_e32 v17, 16, v9
	v_lshl_or_b32 v18, v7, 2, 64
	s_movk_i32 s6, 0x64
	s_waitcnt vmcnt(1)
	v_cmp_ne_u16_e32 vcc, 0, v6
	s_branch .LBB52_2
.LBB52_1:                               ;   in Loop: Header=BB52_2 Depth=1
	s_or_b64 exec, exec, s[4:5]
	s_waitcnt lgkmcnt(1)
	ds_bpermute_b32 v6, v18, v2
	s_waitcnt lgkmcnt(1)
	ds_bpermute_b32 v7, v18, v3
	s_add_i32 s6, s6, -1
	v_cmp_gt_u32_e64 s[0:1], v17, v19
	s_cmp_eq_u32 s6, 0
	s_waitcnt lgkmcnt(0)
	v_add_f64 v[6:7], v[2:3], v[6:7]
	v_cndmask_b32_e64 v3, v7, v3, s[0:1]
	v_cndmask_b32_e64 v2, v6, v2, s[0:1]
	s_cbranch_scc1 .LBB52_10
.LBB52_2:                               ; =>This Inner Loop Header: Depth=1
	v_cndmask_b32_e64 v6, 0, 1, vcc
	v_cmp_ne_u32_e64 s[0:1], 0, v6
	s_lshr_b64 s[0:1], s[0:1], 1
	v_and_b32_e32 v7, s1, v5
	v_and_b32_e32 v6, s0, v4
	v_lshrrev_b64 v[6:7], v8, v[6:7]
	v_or_b32_e32 v19, 0x80000000, v6
	v_ffbl_b32_e32 v20, v7
	s_waitcnt vmcnt(0)
	ds_bpermute_b32 v6, v13, v2
	ds_bpermute_b32 v7, v13, v3
	v_add_u32_e32 v20, 32, v20
	v_ffbl_b32_e32 v19, v19
	v_min_u32_e32 v19, v19, v20
	v_cmp_lt_u32_e64 s[0:1], v9, v19
	s_and_saveexec_b64 s[4:5], s[0:1]
	s_cbranch_execz .LBB52_4
; %bb.3:                                ;   in Loop: Header=BB52_2 Depth=1
	s_waitcnt lgkmcnt(0)
	v_add_f64 v[2:3], v[2:3], v[6:7]
.LBB52_4:                               ;   in Loop: Header=BB52_2 Depth=1
	s_or_b64 exec, exec, s[4:5]
	s_waitcnt lgkmcnt(1)
	ds_bpermute_b32 v6, v14, v2
	s_waitcnt lgkmcnt(1)
	ds_bpermute_b32 v7, v14, v3
	v_cmp_le_u32_e64 s[0:1], v10, v19
	s_and_saveexec_b64 s[4:5], s[0:1]
	s_cbranch_execz .LBB52_6
; %bb.5:                                ;   in Loop: Header=BB52_2 Depth=1
	s_waitcnt lgkmcnt(0)
	v_add_f64 v[2:3], v[2:3], v[6:7]
.LBB52_6:                               ;   in Loop: Header=BB52_2 Depth=1
	s_or_b64 exec, exec, s[4:5]
	s_waitcnt lgkmcnt(1)
	ds_bpermute_b32 v6, v15, v2
	s_waitcnt lgkmcnt(1)
	ds_bpermute_b32 v7, v15, v3
	v_cmp_le_u32_e64 s[0:1], v11, v19
	;; [unrolled: 12-line block ×3, first 2 shown]
	s_and_saveexec_b64 s[4:5], s[0:1]
	s_cbranch_execz .LBB52_1
; %bb.9:                                ;   in Loop: Header=BB52_2 Depth=1
	s_waitcnt lgkmcnt(0)
	v_add_f64 v[2:3], v[2:3], v[6:7]
	s_branch .LBB52_1
.LBB52_10:
	v_mov_b32_e32 v4, s3
	v_add_co_u32_e32 v0, vcc, s2, v0
	v_addc_co_u32_e32 v1, vcc, v4, v1, vcc
	global_store_dwordx2 v[0:1], v[2:3], off
	s_endpgm
	.section	.rodata,"a",@progbits
	.p2align	6, 0x0
	.amdhsa_kernel _Z28segmented_warp_reduce_kernelIdhLj32ELj100EENSt9enable_ifIXsr15benchmark_utilsE35device_test_enabled_for_warp_size_vIXT1_EEEvE4typeEPKT_PT0_PS3_
		.amdhsa_group_segment_fixed_size 0
		.amdhsa_private_segment_fixed_size 0
		.amdhsa_kernarg_size 280
		.amdhsa_user_sgpr_count 6
		.amdhsa_user_sgpr_private_segment_buffer 1
		.amdhsa_user_sgpr_dispatch_ptr 0
		.amdhsa_user_sgpr_queue_ptr 0
		.amdhsa_user_sgpr_kernarg_segment_ptr 1
		.amdhsa_user_sgpr_dispatch_id 0
		.amdhsa_user_sgpr_flat_scratch_init 0
		.amdhsa_user_sgpr_private_segment_size 0
		.amdhsa_uses_dynamic_stack 0
		.amdhsa_system_sgpr_private_segment_wavefront_offset 0
		.amdhsa_system_sgpr_workgroup_id_x 1
		.amdhsa_system_sgpr_workgroup_id_y 0
		.amdhsa_system_sgpr_workgroup_id_z 0
		.amdhsa_system_sgpr_workgroup_info 0
		.amdhsa_system_vgpr_workitem_id 0
		.amdhsa_next_free_vgpr 21
		.amdhsa_next_free_sgpr 12
		.amdhsa_reserve_vcc 1
		.amdhsa_reserve_flat_scratch 0
		.amdhsa_float_round_mode_32 0
		.amdhsa_float_round_mode_16_64 0
		.amdhsa_float_denorm_mode_32 3
		.amdhsa_float_denorm_mode_16_64 3
		.amdhsa_dx10_clamp 1
		.amdhsa_ieee_mode 1
		.amdhsa_fp16_overflow 0
		.amdhsa_exception_fp_ieee_invalid_op 0
		.amdhsa_exception_fp_denorm_src 0
		.amdhsa_exception_fp_ieee_div_zero 0
		.amdhsa_exception_fp_ieee_overflow 0
		.amdhsa_exception_fp_ieee_underflow 0
		.amdhsa_exception_fp_ieee_inexact 0
		.amdhsa_exception_int_div_zero 0
	.end_amdhsa_kernel
	.section	.text._Z28segmented_warp_reduce_kernelIdhLj32ELj100EENSt9enable_ifIXsr15benchmark_utilsE35device_test_enabled_for_warp_size_vIXT1_EEEvE4typeEPKT_PT0_PS3_,"axG",@progbits,_Z28segmented_warp_reduce_kernelIdhLj32ELj100EENSt9enable_ifIXsr15benchmark_utilsE35device_test_enabled_for_warp_size_vIXT1_EEEvE4typeEPKT_PT0_PS3_,comdat
.Lfunc_end52:
	.size	_Z28segmented_warp_reduce_kernelIdhLj32ELj100EENSt9enable_ifIXsr15benchmark_utilsE35device_test_enabled_for_warp_size_vIXT1_EEEvE4typeEPKT_PT0_PS3_, .Lfunc_end52-_Z28segmented_warp_reduce_kernelIdhLj32ELj100EENSt9enable_ifIXsr15benchmark_utilsE35device_test_enabled_for_warp_size_vIXT1_EEEvE4typeEPKT_PT0_PS3_
                                        ; -- End function
	.set _Z28segmented_warp_reduce_kernelIdhLj32ELj100EENSt9enable_ifIXsr15benchmark_utilsE35device_test_enabled_for_warp_size_vIXT1_EEEvE4typeEPKT_PT0_PS3_.num_vgpr, 21
	.set _Z28segmented_warp_reduce_kernelIdhLj32ELj100EENSt9enable_ifIXsr15benchmark_utilsE35device_test_enabled_for_warp_size_vIXT1_EEEvE4typeEPKT_PT0_PS3_.num_agpr, 0
	.set _Z28segmented_warp_reduce_kernelIdhLj32ELj100EENSt9enable_ifIXsr15benchmark_utilsE35device_test_enabled_for_warp_size_vIXT1_EEEvE4typeEPKT_PT0_PS3_.numbered_sgpr, 12
	.set _Z28segmented_warp_reduce_kernelIdhLj32ELj100EENSt9enable_ifIXsr15benchmark_utilsE35device_test_enabled_for_warp_size_vIXT1_EEEvE4typeEPKT_PT0_PS3_.num_named_barrier, 0
	.set _Z28segmented_warp_reduce_kernelIdhLj32ELj100EENSt9enable_ifIXsr15benchmark_utilsE35device_test_enabled_for_warp_size_vIXT1_EEEvE4typeEPKT_PT0_PS3_.private_seg_size, 0
	.set _Z28segmented_warp_reduce_kernelIdhLj32ELj100EENSt9enable_ifIXsr15benchmark_utilsE35device_test_enabled_for_warp_size_vIXT1_EEEvE4typeEPKT_PT0_PS3_.uses_vcc, 1
	.set _Z28segmented_warp_reduce_kernelIdhLj32ELj100EENSt9enable_ifIXsr15benchmark_utilsE35device_test_enabled_for_warp_size_vIXT1_EEEvE4typeEPKT_PT0_PS3_.uses_flat_scratch, 0
	.set _Z28segmented_warp_reduce_kernelIdhLj32ELj100EENSt9enable_ifIXsr15benchmark_utilsE35device_test_enabled_for_warp_size_vIXT1_EEEvE4typeEPKT_PT0_PS3_.has_dyn_sized_stack, 0
	.set _Z28segmented_warp_reduce_kernelIdhLj32ELj100EENSt9enable_ifIXsr15benchmark_utilsE35device_test_enabled_for_warp_size_vIXT1_EEEvE4typeEPKT_PT0_PS3_.has_recursion, 0
	.set _Z28segmented_warp_reduce_kernelIdhLj32ELj100EENSt9enable_ifIXsr15benchmark_utilsE35device_test_enabled_for_warp_size_vIXT1_EEEvE4typeEPKT_PT0_PS3_.has_indirect_call, 0
	.section	.AMDGPU.csdata,"",@progbits
; Kernel info:
; codeLenInByte = 612
; TotalNumSgprs: 16
; NumVgprs: 21
; ScratchSize: 0
; MemoryBound: 0
; FloatMode: 240
; IeeeMode: 1
; LDSByteSize: 0 bytes/workgroup (compile time only)
; SGPRBlocks: 1
; VGPRBlocks: 5
; NumSGPRsForWavesPerEU: 16
; NumVGPRsForWavesPerEU: 21
; Occupancy: 10
; WaveLimiterHint : 0
; COMPUTE_PGM_RSRC2:SCRATCH_EN: 0
; COMPUTE_PGM_RSRC2:USER_SGPR: 6
; COMPUTE_PGM_RSRC2:TRAP_HANDLER: 0
; COMPUTE_PGM_RSRC2:TGID_X_EN: 1
; COMPUTE_PGM_RSRC2:TGID_Y_EN: 0
; COMPUTE_PGM_RSRC2:TGID_Z_EN: 0
; COMPUTE_PGM_RSRC2:TIDIG_COMP_CNT: 0
	.section	.text._Z28segmented_warp_reduce_kernelIdhLj37ELj100EENSt9enable_ifIXsr15benchmark_utilsE35device_test_enabled_for_warp_size_vIXT1_EEEvE4typeEPKT_PT0_PS3_,"axG",@progbits,_Z28segmented_warp_reduce_kernelIdhLj37ELj100EENSt9enable_ifIXsr15benchmark_utilsE35device_test_enabled_for_warp_size_vIXT1_EEEvE4typeEPKT_PT0_PS3_,comdat
	.protected	_Z28segmented_warp_reduce_kernelIdhLj37ELj100EENSt9enable_ifIXsr15benchmark_utilsE35device_test_enabled_for_warp_size_vIXT1_EEEvE4typeEPKT_PT0_PS3_ ; -- Begin function _Z28segmented_warp_reduce_kernelIdhLj37ELj100EENSt9enable_ifIXsr15benchmark_utilsE35device_test_enabled_for_warp_size_vIXT1_EEEvE4typeEPKT_PT0_PS3_
	.globl	_Z28segmented_warp_reduce_kernelIdhLj37ELj100EENSt9enable_ifIXsr15benchmark_utilsE35device_test_enabled_for_warp_size_vIXT1_EEEvE4typeEPKT_PT0_PS3_
	.p2align	8
	.type	_Z28segmented_warp_reduce_kernelIdhLj37ELj100EENSt9enable_ifIXsr15benchmark_utilsE35device_test_enabled_for_warp_size_vIXT1_EEEvE4typeEPKT_PT0_PS3_,@function
_Z28segmented_warp_reduce_kernelIdhLj37ELj100EENSt9enable_ifIXsr15benchmark_utilsE35device_test_enabled_for_warp_size_vIXT1_EEEvE4typeEPKT_PT0_PS3_: ; @_Z28segmented_warp_reduce_kernelIdhLj37ELj100EENSt9enable_ifIXsr15benchmark_utilsE35device_test_enabled_for_warp_size_vIXT1_EEEvE4typeEPKT_PT0_PS3_
; %bb.0:
	s_load_dword s2, s[4:5], 0x24
	s_load_dwordx4 s[8:11], s[4:5], 0x0
	s_load_dwordx2 s[0:1], s[4:5], 0x10
	v_mov_b32_e32 v3, 0
	v_mbcnt_lo_u32_b32 v4, -1, 0
	s_waitcnt lgkmcnt(0)
	s_and_b32 s2, s2, 0xffff
	s_mul_i32 s6, s6, s2
	v_add_u32_e32 v2, s6, v0
	v_lshlrev_b64 v[0:1], 3, v[2:3]
	v_mov_b32_e32 v3, s9
	global_load_ubyte v14, v2, s[10:11]
	v_add_co_u32_e32 v2, vcc, s8, v0
	v_addc_co_u32_e32 v3, vcc, v3, v1, vcc
	global_load_dwordx2 v[2:3], v[2:3], off
	v_mbcnt_hi_u32_b32 v4, -1, v4
	s_mov_b32 s2, 0x6eb3e46
	v_mul_hi_u32 v5, v4, s2
	s_movk_i32 s4, 0x64
	v_mul_u32_u24_e32 v6, 37, v5
	v_sub_u32_e32 v7, v4, v6
	v_lshlrev_b64 v[4:5], v4, -1
	v_lshlrev_b32_e32 v8, 3, v7
	v_add_u32_e32 v9, 2, v7
	v_add_u32_e32 v10, 4, v7
	;; [unrolled: 1-line block ×5, first 2 shown]
	s_waitcnt vmcnt(1)
	v_cmp_ne_u16_e32 vcc, 0, v14
	v_cndmask_b32_e64 v14, 0, 1, vcc
	s_branch .LBB53_2
.LBB53_1:                               ;   in Loop: Header=BB53_2 Depth=1
	s_or_b64 exec, exec, s[2:3]
	s_add_i32 s4, s4, -1
	s_cmp_eq_u32 s4, 0
	; wave barrier
	s_cbranch_scc1 .LBB53_14
.LBB53_2:                               ; =>This Inner Loop Header: Depth=1
	v_cmp_ne_u32_e32 vcc, 0, v14
	s_lshr_b64 s[2:3], vcc, 1
	v_and_b32_e32 v16, s3, v5
	v_and_b32_e32 v15, s2, v4
	v_lshrrev_b64 v[15:16], v6, v[15:16]
	s_waitcnt vmcnt(0)
	ds_write_b64 v8, v[2:3]
	v_or_b32_e32 v16, 16, v16
	v_ffbl_b32_e32 v16, v16
	v_add_u32_e32 v16, 32, v16
	v_ffbl_b32_e32 v15, v15
	v_min_u32_e32 v15, v15, v16
	v_cmp_lt_u32_e32 vcc, v7, v15
	; wave barrier
	s_and_saveexec_b64 s[2:3], vcc
	s_cbranch_execz .LBB53_4
; %bb.3:                                ;   in Loop: Header=BB53_2 Depth=1
	ds_read_b64 v[16:17], v8 offset:8
	s_waitcnt lgkmcnt(0)
	v_add_f64 v[2:3], v[2:3], v[16:17]
.LBB53_4:                               ;   in Loop: Header=BB53_2 Depth=1
	s_or_b64 exec, exec, s[2:3]
	v_cmp_le_u32_e32 vcc, v9, v15
	; wave barrier
	ds_write_b64 v8, v[2:3]
	; wave barrier
	s_and_saveexec_b64 s[2:3], vcc
	s_cbranch_execz .LBB53_6
; %bb.5:                                ;   in Loop: Header=BB53_2 Depth=1
	ds_read_b64 v[16:17], v8 offset:16
	s_waitcnt lgkmcnt(0)
	v_add_f64 v[2:3], v[2:3], v[16:17]
.LBB53_6:                               ;   in Loop: Header=BB53_2 Depth=1
	s_or_b64 exec, exec, s[2:3]
	v_cmp_le_u32_e32 vcc, v10, v15
	; wave barrier
	ds_write_b64 v8, v[2:3]
	;; [unrolled: 12-line block ×3, first 2 shown]
	; wave barrier
	s_and_saveexec_b64 s[2:3], vcc
	s_cbranch_execz .LBB53_10
; %bb.9:                                ;   in Loop: Header=BB53_2 Depth=1
	ds_read_b64 v[16:17], v8 offset:64
	s_waitcnt lgkmcnt(0)
	v_add_f64 v[2:3], v[2:3], v[16:17]
.LBB53_10:                              ;   in Loop: Header=BB53_2 Depth=1
	s_or_b64 exec, exec, s[2:3]
	v_cmp_le_u32_e32 vcc, v12, v15
	; wave barrier
	ds_write_b64 v8, v[2:3]
	; wave barrier
	s_and_saveexec_b64 s[2:3], vcc
	s_cbranch_execz .LBB53_12
; %bb.11:                               ;   in Loop: Header=BB53_2 Depth=1
	ds_read_b64 v[16:17], v8 offset:128
	s_waitcnt lgkmcnt(0)
	v_add_f64 v[2:3], v[2:3], v[16:17]
.LBB53_12:                              ;   in Loop: Header=BB53_2 Depth=1
	s_or_b64 exec, exec, s[2:3]
	v_cmp_le_u32_e32 vcc, v13, v15
	; wave barrier
	ds_write_b64 v8, v[2:3]
	; wave barrier
	s_and_saveexec_b64 s[2:3], vcc
	s_cbranch_execz .LBB53_1
; %bb.13:                               ;   in Loop: Header=BB53_2 Depth=1
	ds_read_b64 v[15:16], v8 offset:256
	s_waitcnt lgkmcnt(0)
	v_add_f64 v[2:3], v[2:3], v[15:16]
	s_branch .LBB53_1
.LBB53_14:
	v_mov_b32_e32 v4, s1
	v_add_co_u32_e32 v0, vcc, s0, v0
	v_addc_co_u32_e32 v1, vcc, v4, v1, vcc
	global_store_dwordx2 v[0:1], v[2:3], off
	s_endpgm
	.section	.rodata,"a",@progbits
	.p2align	6, 0x0
	.amdhsa_kernel _Z28segmented_warp_reduce_kernelIdhLj37ELj100EENSt9enable_ifIXsr15benchmark_utilsE35device_test_enabled_for_warp_size_vIXT1_EEEvE4typeEPKT_PT0_PS3_
		.amdhsa_group_segment_fixed_size 296
		.amdhsa_private_segment_fixed_size 0
		.amdhsa_kernarg_size 280
		.amdhsa_user_sgpr_count 6
		.amdhsa_user_sgpr_private_segment_buffer 1
		.amdhsa_user_sgpr_dispatch_ptr 0
		.amdhsa_user_sgpr_queue_ptr 0
		.amdhsa_user_sgpr_kernarg_segment_ptr 1
		.amdhsa_user_sgpr_dispatch_id 0
		.amdhsa_user_sgpr_flat_scratch_init 0
		.amdhsa_user_sgpr_private_segment_size 0
		.amdhsa_uses_dynamic_stack 0
		.amdhsa_system_sgpr_private_segment_wavefront_offset 0
		.amdhsa_system_sgpr_workgroup_id_x 1
		.amdhsa_system_sgpr_workgroup_id_y 0
		.amdhsa_system_sgpr_workgroup_id_z 0
		.amdhsa_system_sgpr_workgroup_info 0
		.amdhsa_system_vgpr_workitem_id 0
		.amdhsa_next_free_vgpr 18
		.amdhsa_next_free_sgpr 12
		.amdhsa_reserve_vcc 1
		.amdhsa_reserve_flat_scratch 0
		.amdhsa_float_round_mode_32 0
		.amdhsa_float_round_mode_16_64 0
		.amdhsa_float_denorm_mode_32 3
		.amdhsa_float_denorm_mode_16_64 3
		.amdhsa_dx10_clamp 1
		.amdhsa_ieee_mode 1
		.amdhsa_fp16_overflow 0
		.amdhsa_exception_fp_ieee_invalid_op 0
		.amdhsa_exception_fp_denorm_src 0
		.amdhsa_exception_fp_ieee_div_zero 0
		.amdhsa_exception_fp_ieee_overflow 0
		.amdhsa_exception_fp_ieee_underflow 0
		.amdhsa_exception_fp_ieee_inexact 0
		.amdhsa_exception_int_div_zero 0
	.end_amdhsa_kernel
	.section	.text._Z28segmented_warp_reduce_kernelIdhLj37ELj100EENSt9enable_ifIXsr15benchmark_utilsE35device_test_enabled_for_warp_size_vIXT1_EEEvE4typeEPKT_PT0_PS3_,"axG",@progbits,_Z28segmented_warp_reduce_kernelIdhLj37ELj100EENSt9enable_ifIXsr15benchmark_utilsE35device_test_enabled_for_warp_size_vIXT1_EEEvE4typeEPKT_PT0_PS3_,comdat
.Lfunc_end53:
	.size	_Z28segmented_warp_reduce_kernelIdhLj37ELj100EENSt9enable_ifIXsr15benchmark_utilsE35device_test_enabled_for_warp_size_vIXT1_EEEvE4typeEPKT_PT0_PS3_, .Lfunc_end53-_Z28segmented_warp_reduce_kernelIdhLj37ELj100EENSt9enable_ifIXsr15benchmark_utilsE35device_test_enabled_for_warp_size_vIXT1_EEEvE4typeEPKT_PT0_PS3_
                                        ; -- End function
	.set _Z28segmented_warp_reduce_kernelIdhLj37ELj100EENSt9enable_ifIXsr15benchmark_utilsE35device_test_enabled_for_warp_size_vIXT1_EEEvE4typeEPKT_PT0_PS3_.num_vgpr, 18
	.set _Z28segmented_warp_reduce_kernelIdhLj37ELj100EENSt9enable_ifIXsr15benchmark_utilsE35device_test_enabled_for_warp_size_vIXT1_EEEvE4typeEPKT_PT0_PS3_.num_agpr, 0
	.set _Z28segmented_warp_reduce_kernelIdhLj37ELj100EENSt9enable_ifIXsr15benchmark_utilsE35device_test_enabled_for_warp_size_vIXT1_EEEvE4typeEPKT_PT0_PS3_.numbered_sgpr, 12
	.set _Z28segmented_warp_reduce_kernelIdhLj37ELj100EENSt9enable_ifIXsr15benchmark_utilsE35device_test_enabled_for_warp_size_vIXT1_EEEvE4typeEPKT_PT0_PS3_.num_named_barrier, 0
	.set _Z28segmented_warp_reduce_kernelIdhLj37ELj100EENSt9enable_ifIXsr15benchmark_utilsE35device_test_enabled_for_warp_size_vIXT1_EEEvE4typeEPKT_PT0_PS3_.private_seg_size, 0
	.set _Z28segmented_warp_reduce_kernelIdhLj37ELj100EENSt9enable_ifIXsr15benchmark_utilsE35device_test_enabled_for_warp_size_vIXT1_EEEvE4typeEPKT_PT0_PS3_.uses_vcc, 1
	.set _Z28segmented_warp_reduce_kernelIdhLj37ELj100EENSt9enable_ifIXsr15benchmark_utilsE35device_test_enabled_for_warp_size_vIXT1_EEEvE4typeEPKT_PT0_PS3_.uses_flat_scratch, 0
	.set _Z28segmented_warp_reduce_kernelIdhLj37ELj100EENSt9enable_ifIXsr15benchmark_utilsE35device_test_enabled_for_warp_size_vIXT1_EEEvE4typeEPKT_PT0_PS3_.has_dyn_sized_stack, 0
	.set _Z28segmented_warp_reduce_kernelIdhLj37ELj100EENSt9enable_ifIXsr15benchmark_utilsE35device_test_enabled_for_warp_size_vIXT1_EEEvE4typeEPKT_PT0_PS3_.has_recursion, 0
	.set _Z28segmented_warp_reduce_kernelIdhLj37ELj100EENSt9enable_ifIXsr15benchmark_utilsE35device_test_enabled_for_warp_size_vIXT1_EEEvE4typeEPKT_PT0_PS3_.has_indirect_call, 0
	.section	.AMDGPU.csdata,"",@progbits
; Kernel info:
; codeLenInByte = 532
; TotalNumSgprs: 16
; NumVgprs: 18
; ScratchSize: 0
; MemoryBound: 0
; FloatMode: 240
; IeeeMode: 1
; LDSByteSize: 296 bytes/workgroup (compile time only)
; SGPRBlocks: 1
; VGPRBlocks: 4
; NumSGPRsForWavesPerEU: 16
; NumVGPRsForWavesPerEU: 18
; Occupancy: 10
; WaveLimiterHint : 0
; COMPUTE_PGM_RSRC2:SCRATCH_EN: 0
; COMPUTE_PGM_RSRC2:USER_SGPR: 6
; COMPUTE_PGM_RSRC2:TRAP_HANDLER: 0
; COMPUTE_PGM_RSRC2:TGID_X_EN: 1
; COMPUTE_PGM_RSRC2:TGID_Y_EN: 0
; COMPUTE_PGM_RSRC2:TGID_Z_EN: 0
; COMPUTE_PGM_RSRC2:TIDIG_COMP_CNT: 0
	.section	.text._Z28segmented_warp_reduce_kernelIdhLj61ELj100EENSt9enable_ifIXsr15benchmark_utilsE35device_test_enabled_for_warp_size_vIXT1_EEEvE4typeEPKT_PT0_PS3_,"axG",@progbits,_Z28segmented_warp_reduce_kernelIdhLj61ELj100EENSt9enable_ifIXsr15benchmark_utilsE35device_test_enabled_for_warp_size_vIXT1_EEEvE4typeEPKT_PT0_PS3_,comdat
	.protected	_Z28segmented_warp_reduce_kernelIdhLj61ELj100EENSt9enable_ifIXsr15benchmark_utilsE35device_test_enabled_for_warp_size_vIXT1_EEEvE4typeEPKT_PT0_PS3_ ; -- Begin function _Z28segmented_warp_reduce_kernelIdhLj61ELj100EENSt9enable_ifIXsr15benchmark_utilsE35device_test_enabled_for_warp_size_vIXT1_EEEvE4typeEPKT_PT0_PS3_
	.globl	_Z28segmented_warp_reduce_kernelIdhLj61ELj100EENSt9enable_ifIXsr15benchmark_utilsE35device_test_enabled_for_warp_size_vIXT1_EEEvE4typeEPKT_PT0_PS3_
	.p2align	8
	.type	_Z28segmented_warp_reduce_kernelIdhLj61ELj100EENSt9enable_ifIXsr15benchmark_utilsE35device_test_enabled_for_warp_size_vIXT1_EEEvE4typeEPKT_PT0_PS3_,@function
_Z28segmented_warp_reduce_kernelIdhLj61ELj100EENSt9enable_ifIXsr15benchmark_utilsE35device_test_enabled_for_warp_size_vIXT1_EEEvE4typeEPKT_PT0_PS3_: ; @_Z28segmented_warp_reduce_kernelIdhLj61ELj100EENSt9enable_ifIXsr15benchmark_utilsE35device_test_enabled_for_warp_size_vIXT1_EEEvE4typeEPKT_PT0_PS3_
; %bb.0:
	s_load_dword s2, s[4:5], 0x24
	s_load_dwordx4 s[8:11], s[4:5], 0x0
	s_load_dwordx2 s[0:1], s[4:5], 0x10
	v_mov_b32_e32 v3, 0
	v_mbcnt_lo_u32_b32 v4, -1, 0
	s_waitcnt lgkmcnt(0)
	s_and_b32 s2, s2, 0xffff
	s_mul_i32 s6, s6, s2
	v_add_u32_e32 v2, s6, v0
	v_lshlrev_b64 v[0:1], 3, v[2:3]
	v_mov_b32_e32 v3, s9
	global_load_ubyte v14, v2, s[10:11]
	v_add_co_u32_e32 v2, vcc, s8, v0
	v_addc_co_u32_e32 v3, vcc, v3, v1, vcc
	global_load_dwordx2 v[2:3], v[2:3], off
	v_mbcnt_hi_u32_b32 v4, -1, v4
	s_mov_b32 s2, 0x4325c54
	v_mul_hi_u32 v5, v4, s2
	s_movk_i32 s4, 0x64
	v_mul_u32_u24_e32 v6, 61, v5
	v_sub_u32_e32 v7, v4, v6
	v_lshlrev_b64 v[4:5], v4, -1
	v_lshlrev_b32_e32 v8, 3, v7
	v_add_u32_e32 v9, 2, v7
	v_add_u32_e32 v10, 4, v7
	v_add_u32_e32 v11, 8, v7
	v_add_u32_e32 v12, 16, v7
	v_add_u32_e32 v13, 32, v7
	s_waitcnt vmcnt(1)
	v_cmp_ne_u16_e32 vcc, 0, v14
	v_cndmask_b32_e64 v14, 0, 1, vcc
	s_branch .LBB54_2
.LBB54_1:                               ;   in Loop: Header=BB54_2 Depth=1
	s_or_b64 exec, exec, s[2:3]
	s_add_i32 s4, s4, -1
	s_cmp_eq_u32 s4, 0
	; wave barrier
	s_cbranch_scc1 .LBB54_14
.LBB54_2:                               ; =>This Inner Loop Header: Depth=1
	v_cmp_ne_u32_e32 vcc, 0, v14
	s_lshr_b64 s[2:3], vcc, 1
	v_and_b32_e32 v16, s3, v5
	v_and_b32_e32 v15, s2, v4
	v_lshrrev_b64 v[15:16], v6, v[15:16]
	s_waitcnt vmcnt(0)
	ds_write_b64 v8, v[2:3]
	v_or_b32_e32 v16, 0x10000000, v16
	v_ffbl_b32_e32 v16, v16
	v_add_u32_e32 v16, 32, v16
	v_ffbl_b32_e32 v15, v15
	v_min_u32_e32 v15, v15, v16
	v_cmp_lt_u32_e32 vcc, v7, v15
	; wave barrier
	s_and_saveexec_b64 s[2:3], vcc
	s_cbranch_execz .LBB54_4
; %bb.3:                                ;   in Loop: Header=BB54_2 Depth=1
	ds_read_b64 v[16:17], v8 offset:8
	s_waitcnt lgkmcnt(0)
	v_add_f64 v[2:3], v[2:3], v[16:17]
.LBB54_4:                               ;   in Loop: Header=BB54_2 Depth=1
	s_or_b64 exec, exec, s[2:3]
	v_cmp_le_u32_e32 vcc, v9, v15
	; wave barrier
	ds_write_b64 v8, v[2:3]
	; wave barrier
	s_and_saveexec_b64 s[2:3], vcc
	s_cbranch_execz .LBB54_6
; %bb.5:                                ;   in Loop: Header=BB54_2 Depth=1
	ds_read_b64 v[16:17], v8 offset:16
	s_waitcnt lgkmcnt(0)
	v_add_f64 v[2:3], v[2:3], v[16:17]
.LBB54_6:                               ;   in Loop: Header=BB54_2 Depth=1
	s_or_b64 exec, exec, s[2:3]
	v_cmp_le_u32_e32 vcc, v10, v15
	; wave barrier
	ds_write_b64 v8, v[2:3]
	;; [unrolled: 12-line block ×3, first 2 shown]
	; wave barrier
	s_and_saveexec_b64 s[2:3], vcc
	s_cbranch_execz .LBB54_10
; %bb.9:                                ;   in Loop: Header=BB54_2 Depth=1
	ds_read_b64 v[16:17], v8 offset:64
	s_waitcnt lgkmcnt(0)
	v_add_f64 v[2:3], v[2:3], v[16:17]
.LBB54_10:                              ;   in Loop: Header=BB54_2 Depth=1
	s_or_b64 exec, exec, s[2:3]
	v_cmp_le_u32_e32 vcc, v12, v15
	; wave barrier
	ds_write_b64 v8, v[2:3]
	; wave barrier
	s_and_saveexec_b64 s[2:3], vcc
	s_cbranch_execz .LBB54_12
; %bb.11:                               ;   in Loop: Header=BB54_2 Depth=1
	ds_read_b64 v[16:17], v8 offset:128
	s_waitcnt lgkmcnt(0)
	v_add_f64 v[2:3], v[2:3], v[16:17]
.LBB54_12:                              ;   in Loop: Header=BB54_2 Depth=1
	s_or_b64 exec, exec, s[2:3]
	v_cmp_le_u32_e32 vcc, v13, v15
	; wave barrier
	ds_write_b64 v8, v[2:3]
	; wave barrier
	s_and_saveexec_b64 s[2:3], vcc
	s_cbranch_execz .LBB54_1
; %bb.13:                               ;   in Loop: Header=BB54_2 Depth=1
	ds_read_b64 v[15:16], v8 offset:256
	s_waitcnt lgkmcnt(0)
	v_add_f64 v[2:3], v[2:3], v[15:16]
	s_branch .LBB54_1
.LBB54_14:
	v_mov_b32_e32 v4, s1
	v_add_co_u32_e32 v0, vcc, s0, v0
	v_addc_co_u32_e32 v1, vcc, v4, v1, vcc
	global_store_dwordx2 v[0:1], v[2:3], off
	s_endpgm
	.section	.rodata,"a",@progbits
	.p2align	6, 0x0
	.amdhsa_kernel _Z28segmented_warp_reduce_kernelIdhLj61ELj100EENSt9enable_ifIXsr15benchmark_utilsE35device_test_enabled_for_warp_size_vIXT1_EEEvE4typeEPKT_PT0_PS3_
		.amdhsa_group_segment_fixed_size 488
		.amdhsa_private_segment_fixed_size 0
		.amdhsa_kernarg_size 280
		.amdhsa_user_sgpr_count 6
		.amdhsa_user_sgpr_private_segment_buffer 1
		.amdhsa_user_sgpr_dispatch_ptr 0
		.amdhsa_user_sgpr_queue_ptr 0
		.amdhsa_user_sgpr_kernarg_segment_ptr 1
		.amdhsa_user_sgpr_dispatch_id 0
		.amdhsa_user_sgpr_flat_scratch_init 0
		.amdhsa_user_sgpr_private_segment_size 0
		.amdhsa_uses_dynamic_stack 0
		.amdhsa_system_sgpr_private_segment_wavefront_offset 0
		.amdhsa_system_sgpr_workgroup_id_x 1
		.amdhsa_system_sgpr_workgroup_id_y 0
		.amdhsa_system_sgpr_workgroup_id_z 0
		.amdhsa_system_sgpr_workgroup_info 0
		.amdhsa_system_vgpr_workitem_id 0
		.amdhsa_next_free_vgpr 18
		.amdhsa_next_free_sgpr 12
		.amdhsa_reserve_vcc 1
		.amdhsa_reserve_flat_scratch 0
		.amdhsa_float_round_mode_32 0
		.amdhsa_float_round_mode_16_64 0
		.amdhsa_float_denorm_mode_32 3
		.amdhsa_float_denorm_mode_16_64 3
		.amdhsa_dx10_clamp 1
		.amdhsa_ieee_mode 1
		.amdhsa_fp16_overflow 0
		.amdhsa_exception_fp_ieee_invalid_op 0
		.amdhsa_exception_fp_denorm_src 0
		.amdhsa_exception_fp_ieee_div_zero 0
		.amdhsa_exception_fp_ieee_overflow 0
		.amdhsa_exception_fp_ieee_underflow 0
		.amdhsa_exception_fp_ieee_inexact 0
		.amdhsa_exception_int_div_zero 0
	.end_amdhsa_kernel
	.section	.text._Z28segmented_warp_reduce_kernelIdhLj61ELj100EENSt9enable_ifIXsr15benchmark_utilsE35device_test_enabled_for_warp_size_vIXT1_EEEvE4typeEPKT_PT0_PS3_,"axG",@progbits,_Z28segmented_warp_reduce_kernelIdhLj61ELj100EENSt9enable_ifIXsr15benchmark_utilsE35device_test_enabled_for_warp_size_vIXT1_EEEvE4typeEPKT_PT0_PS3_,comdat
.Lfunc_end54:
	.size	_Z28segmented_warp_reduce_kernelIdhLj61ELj100EENSt9enable_ifIXsr15benchmark_utilsE35device_test_enabled_for_warp_size_vIXT1_EEEvE4typeEPKT_PT0_PS3_, .Lfunc_end54-_Z28segmented_warp_reduce_kernelIdhLj61ELj100EENSt9enable_ifIXsr15benchmark_utilsE35device_test_enabled_for_warp_size_vIXT1_EEEvE4typeEPKT_PT0_PS3_
                                        ; -- End function
	.set _Z28segmented_warp_reduce_kernelIdhLj61ELj100EENSt9enable_ifIXsr15benchmark_utilsE35device_test_enabled_for_warp_size_vIXT1_EEEvE4typeEPKT_PT0_PS3_.num_vgpr, 18
	.set _Z28segmented_warp_reduce_kernelIdhLj61ELj100EENSt9enable_ifIXsr15benchmark_utilsE35device_test_enabled_for_warp_size_vIXT1_EEEvE4typeEPKT_PT0_PS3_.num_agpr, 0
	.set _Z28segmented_warp_reduce_kernelIdhLj61ELj100EENSt9enable_ifIXsr15benchmark_utilsE35device_test_enabled_for_warp_size_vIXT1_EEEvE4typeEPKT_PT0_PS3_.numbered_sgpr, 12
	.set _Z28segmented_warp_reduce_kernelIdhLj61ELj100EENSt9enable_ifIXsr15benchmark_utilsE35device_test_enabled_for_warp_size_vIXT1_EEEvE4typeEPKT_PT0_PS3_.num_named_barrier, 0
	.set _Z28segmented_warp_reduce_kernelIdhLj61ELj100EENSt9enable_ifIXsr15benchmark_utilsE35device_test_enabled_for_warp_size_vIXT1_EEEvE4typeEPKT_PT0_PS3_.private_seg_size, 0
	.set _Z28segmented_warp_reduce_kernelIdhLj61ELj100EENSt9enable_ifIXsr15benchmark_utilsE35device_test_enabled_for_warp_size_vIXT1_EEEvE4typeEPKT_PT0_PS3_.uses_vcc, 1
	.set _Z28segmented_warp_reduce_kernelIdhLj61ELj100EENSt9enable_ifIXsr15benchmark_utilsE35device_test_enabled_for_warp_size_vIXT1_EEEvE4typeEPKT_PT0_PS3_.uses_flat_scratch, 0
	.set _Z28segmented_warp_reduce_kernelIdhLj61ELj100EENSt9enable_ifIXsr15benchmark_utilsE35device_test_enabled_for_warp_size_vIXT1_EEEvE4typeEPKT_PT0_PS3_.has_dyn_sized_stack, 0
	.set _Z28segmented_warp_reduce_kernelIdhLj61ELj100EENSt9enable_ifIXsr15benchmark_utilsE35device_test_enabled_for_warp_size_vIXT1_EEEvE4typeEPKT_PT0_PS3_.has_recursion, 0
	.set _Z28segmented_warp_reduce_kernelIdhLj61ELj100EENSt9enable_ifIXsr15benchmark_utilsE35device_test_enabled_for_warp_size_vIXT1_EEEvE4typeEPKT_PT0_PS3_.has_indirect_call, 0
	.section	.AMDGPU.csdata,"",@progbits
; Kernel info:
; codeLenInByte = 536
; TotalNumSgprs: 16
; NumVgprs: 18
; ScratchSize: 0
; MemoryBound: 0
; FloatMode: 240
; IeeeMode: 1
; LDSByteSize: 488 bytes/workgroup (compile time only)
; SGPRBlocks: 1
; VGPRBlocks: 4
; NumSGPRsForWavesPerEU: 16
; NumVGPRsForWavesPerEU: 18
; Occupancy: 10
; WaveLimiterHint : 0
; COMPUTE_PGM_RSRC2:SCRATCH_EN: 0
; COMPUTE_PGM_RSRC2:USER_SGPR: 6
; COMPUTE_PGM_RSRC2:TRAP_HANDLER: 0
; COMPUTE_PGM_RSRC2:TGID_X_EN: 1
; COMPUTE_PGM_RSRC2:TGID_Y_EN: 0
; COMPUTE_PGM_RSRC2:TGID_Z_EN: 0
; COMPUTE_PGM_RSRC2:TIDIG_COMP_CNT: 0
	.section	.text._Z28segmented_warp_reduce_kernelIdhLj64ELj100EENSt9enable_ifIXsr15benchmark_utilsE35device_test_enabled_for_warp_size_vIXT1_EEEvE4typeEPKT_PT0_PS3_,"axG",@progbits,_Z28segmented_warp_reduce_kernelIdhLj64ELj100EENSt9enable_ifIXsr15benchmark_utilsE35device_test_enabled_for_warp_size_vIXT1_EEEvE4typeEPKT_PT0_PS3_,comdat
	.protected	_Z28segmented_warp_reduce_kernelIdhLj64ELj100EENSt9enable_ifIXsr15benchmark_utilsE35device_test_enabled_for_warp_size_vIXT1_EEEvE4typeEPKT_PT0_PS3_ ; -- Begin function _Z28segmented_warp_reduce_kernelIdhLj64ELj100EENSt9enable_ifIXsr15benchmark_utilsE35device_test_enabled_for_warp_size_vIXT1_EEEvE4typeEPKT_PT0_PS3_
	.globl	_Z28segmented_warp_reduce_kernelIdhLj64ELj100EENSt9enable_ifIXsr15benchmark_utilsE35device_test_enabled_for_warp_size_vIXT1_EEEvE4typeEPKT_PT0_PS3_
	.p2align	8
	.type	_Z28segmented_warp_reduce_kernelIdhLj64ELj100EENSt9enable_ifIXsr15benchmark_utilsE35device_test_enabled_for_warp_size_vIXT1_EEEvE4typeEPKT_PT0_PS3_,@function
_Z28segmented_warp_reduce_kernelIdhLj64ELj100EENSt9enable_ifIXsr15benchmark_utilsE35device_test_enabled_for_warp_size_vIXT1_EEEvE4typeEPKT_PT0_PS3_: ; @_Z28segmented_warp_reduce_kernelIdhLj64ELj100EENSt9enable_ifIXsr15benchmark_utilsE35device_test_enabled_for_warp_size_vIXT1_EEEvE4typeEPKT_PT0_PS3_
; %bb.0:
	s_load_dword s0, s[4:5], 0x24
	s_load_dwordx4 s[8:11], s[4:5], 0x0
	s_load_dwordx2 s[2:3], s[4:5], 0x10
	v_mov_b32_e32 v3, 0
	v_mbcnt_lo_u32_b32 v4, -1, 0
	s_waitcnt lgkmcnt(0)
	s_and_b32 s0, s0, 0xffff
	s_mul_i32 s6, s6, s0
	v_add_u32_e32 v2, s6, v0
	v_lshlrev_b64 v[0:1], 3, v[2:3]
	v_mov_b32_e32 v3, s9
	global_load_ubyte v6, v2, s[10:11]
	v_add_co_u32_e32 v2, vcc, s8, v0
	v_addc_co_u32_e32 v3, vcc, v3, v1, vcc
	global_load_dwordx2 v[2:3], v[2:3], off
	v_mbcnt_hi_u32_b32 v19, -1, v4
	v_and_b32_e32 v13, 63, v19
	v_cmp_ne_u32_e32 vcc, 63, v13
	v_addc_co_u32_e32 v14, vcc, 0, v19, vcc
	v_cmp_gt_u32_e32 vcc, 62, v13
	v_cndmask_b32_e64 v15, 0, 2, vcc
	v_cmp_gt_u32_e32 vcc, 60, v13
	v_cndmask_b32_e64 v16, 0, 4, vcc
	;; [unrolled: 2-line block ×3, first 2 shown]
	v_cmp_gt_u32_e32 vcc, 48, v13
	v_mov_b32_e32 v7, 0x80
	v_lshlrev_b64 v[4:5], v19, -1
	v_cndmask_b32_e64 v18, 0, 16, vcc
	v_add_u32_e32 v8, 1, v19
	v_add_u32_e32 v9, 2, v19
	;; [unrolled: 1-line block ×5, first 2 shown]
	v_lshlrev_b32_e32 v13, 2, v14
	v_add_lshl_u32 v14, v15, v19, 2
	v_add_lshl_u32 v15, v16, v19, 2
	v_add_lshl_u32 v16, v17, v19, 2
	v_add_lshl_u32 v17, v18, v19, 2
	v_lshl_or_b32 v18, v19, 2, v7
	v_add_u32_e32 v19, 32, v19
	s_movk_i32 s6, 0x64
	s_waitcnt vmcnt(1)
	v_cmp_ne_u16_e32 vcc, 0, v6
	s_branch .LBB55_2
.LBB55_1:                               ;   in Loop: Header=BB55_2 Depth=1
	s_or_b64 exec, exec, s[4:5]
	s_waitcnt lgkmcnt(1)
	ds_bpermute_b32 v6, v18, v2
	s_waitcnt lgkmcnt(1)
	ds_bpermute_b32 v7, v18, v3
	s_add_i32 s6, s6, -1
	v_cmp_gt_u32_e64 s[0:1], v19, v20
	s_cmp_eq_u32 s6, 0
	s_waitcnt lgkmcnt(0)
	v_add_f64 v[6:7], v[2:3], v[6:7]
	v_cndmask_b32_e64 v3, v7, v3, s[0:1]
	v_cndmask_b32_e64 v2, v6, v2, s[0:1]
	s_cbranch_scc1 .LBB55_12
.LBB55_2:                               ; =>This Inner Loop Header: Depth=1
	v_cndmask_b32_e64 v6, 0, 1, vcc
	v_cmp_ne_u32_e64 s[0:1], 0, v6
	s_lshr_b64 s[0:1], s[0:1], 1
	v_and_b32_e32 v6, s1, v5
	v_or_b32_e32 v6, 0x80000000, v6
	v_ffbl_b32_e32 v21, v6
	s_waitcnt vmcnt(0)
	ds_bpermute_b32 v6, v13, v2
	ds_bpermute_b32 v7, v13, v3
	v_and_b32_e32 v20, s0, v4
	v_add_u32_e32 v21, 32, v21
	v_ffbl_b32_e32 v20, v20
	v_min_u32_e32 v20, v20, v21
	v_cmp_le_u32_e64 s[0:1], v8, v20
	s_and_saveexec_b64 s[4:5], s[0:1]
	s_cbranch_execz .LBB55_4
; %bb.3:                                ;   in Loop: Header=BB55_2 Depth=1
	s_waitcnt lgkmcnt(0)
	v_add_f64 v[2:3], v[2:3], v[6:7]
.LBB55_4:                               ;   in Loop: Header=BB55_2 Depth=1
	s_or_b64 exec, exec, s[4:5]
	s_waitcnt lgkmcnt(1)
	ds_bpermute_b32 v6, v14, v2
	s_waitcnt lgkmcnt(1)
	ds_bpermute_b32 v7, v14, v3
	v_cmp_le_u32_e64 s[0:1], v9, v20
	s_and_saveexec_b64 s[4:5], s[0:1]
	s_cbranch_execz .LBB55_6
; %bb.5:                                ;   in Loop: Header=BB55_2 Depth=1
	s_waitcnt lgkmcnt(0)
	v_add_f64 v[2:3], v[2:3], v[6:7]
.LBB55_6:                               ;   in Loop: Header=BB55_2 Depth=1
	s_or_b64 exec, exec, s[4:5]
	s_waitcnt lgkmcnt(1)
	ds_bpermute_b32 v6, v15, v2
	s_waitcnt lgkmcnt(1)
	ds_bpermute_b32 v7, v15, v3
	;; [unrolled: 12-line block ×3, first 2 shown]
	v_cmp_le_u32_e64 s[0:1], v11, v20
	s_and_saveexec_b64 s[4:5], s[0:1]
	s_cbranch_execz .LBB55_10
; %bb.9:                                ;   in Loop: Header=BB55_2 Depth=1
	s_waitcnt lgkmcnt(0)
	v_add_f64 v[2:3], v[2:3], v[6:7]
.LBB55_10:                              ;   in Loop: Header=BB55_2 Depth=1
	s_or_b64 exec, exec, s[4:5]
	s_waitcnt lgkmcnt(1)
	ds_bpermute_b32 v6, v17, v2
	s_waitcnt lgkmcnt(1)
	ds_bpermute_b32 v7, v17, v3
	v_cmp_le_u32_e64 s[0:1], v12, v20
	s_and_saveexec_b64 s[4:5], s[0:1]
	s_cbranch_execz .LBB55_1
; %bb.11:                               ;   in Loop: Header=BB55_2 Depth=1
	s_waitcnt lgkmcnt(0)
	v_add_f64 v[2:3], v[2:3], v[6:7]
	s_branch .LBB55_1
.LBB55_12:
	v_mov_b32_e32 v4, s3
	v_add_co_u32_e32 v0, vcc, s2, v0
	v_addc_co_u32_e32 v1, vcc, v4, v1, vcc
	global_store_dwordx2 v[0:1], v[2:3], off
	s_endpgm
	.section	.rodata,"a",@progbits
	.p2align	6, 0x0
	.amdhsa_kernel _Z28segmented_warp_reduce_kernelIdhLj64ELj100EENSt9enable_ifIXsr15benchmark_utilsE35device_test_enabled_for_warp_size_vIXT1_EEEvE4typeEPKT_PT0_PS3_
		.amdhsa_group_segment_fixed_size 0
		.amdhsa_private_segment_fixed_size 0
		.amdhsa_kernarg_size 280
		.amdhsa_user_sgpr_count 6
		.amdhsa_user_sgpr_private_segment_buffer 1
		.amdhsa_user_sgpr_dispatch_ptr 0
		.amdhsa_user_sgpr_queue_ptr 0
		.amdhsa_user_sgpr_kernarg_segment_ptr 1
		.amdhsa_user_sgpr_dispatch_id 0
		.amdhsa_user_sgpr_flat_scratch_init 0
		.amdhsa_user_sgpr_private_segment_size 0
		.amdhsa_uses_dynamic_stack 0
		.amdhsa_system_sgpr_private_segment_wavefront_offset 0
		.amdhsa_system_sgpr_workgroup_id_x 1
		.amdhsa_system_sgpr_workgroup_id_y 0
		.amdhsa_system_sgpr_workgroup_id_z 0
		.amdhsa_system_sgpr_workgroup_info 0
		.amdhsa_system_vgpr_workitem_id 0
		.amdhsa_next_free_vgpr 22
		.amdhsa_next_free_sgpr 12
		.amdhsa_reserve_vcc 1
		.amdhsa_reserve_flat_scratch 0
		.amdhsa_float_round_mode_32 0
		.amdhsa_float_round_mode_16_64 0
		.amdhsa_float_denorm_mode_32 3
		.amdhsa_float_denorm_mode_16_64 3
		.amdhsa_dx10_clamp 1
		.amdhsa_ieee_mode 1
		.amdhsa_fp16_overflow 0
		.amdhsa_exception_fp_ieee_invalid_op 0
		.amdhsa_exception_fp_denorm_src 0
		.amdhsa_exception_fp_ieee_div_zero 0
		.amdhsa_exception_fp_ieee_overflow 0
		.amdhsa_exception_fp_ieee_underflow 0
		.amdhsa_exception_fp_ieee_inexact 0
		.amdhsa_exception_int_div_zero 0
	.end_amdhsa_kernel
	.section	.text._Z28segmented_warp_reduce_kernelIdhLj64ELj100EENSt9enable_ifIXsr15benchmark_utilsE35device_test_enabled_for_warp_size_vIXT1_EEEvE4typeEPKT_PT0_PS3_,"axG",@progbits,_Z28segmented_warp_reduce_kernelIdhLj64ELj100EENSt9enable_ifIXsr15benchmark_utilsE35device_test_enabled_for_warp_size_vIXT1_EEEvE4typeEPKT_PT0_PS3_,comdat
.Lfunc_end55:
	.size	_Z28segmented_warp_reduce_kernelIdhLj64ELj100EENSt9enable_ifIXsr15benchmark_utilsE35device_test_enabled_for_warp_size_vIXT1_EEEvE4typeEPKT_PT0_PS3_, .Lfunc_end55-_Z28segmented_warp_reduce_kernelIdhLj64ELj100EENSt9enable_ifIXsr15benchmark_utilsE35device_test_enabled_for_warp_size_vIXT1_EEEvE4typeEPKT_PT0_PS3_
                                        ; -- End function
	.set _Z28segmented_warp_reduce_kernelIdhLj64ELj100EENSt9enable_ifIXsr15benchmark_utilsE35device_test_enabled_for_warp_size_vIXT1_EEEvE4typeEPKT_PT0_PS3_.num_vgpr, 22
	.set _Z28segmented_warp_reduce_kernelIdhLj64ELj100EENSt9enable_ifIXsr15benchmark_utilsE35device_test_enabled_for_warp_size_vIXT1_EEEvE4typeEPKT_PT0_PS3_.num_agpr, 0
	.set _Z28segmented_warp_reduce_kernelIdhLj64ELj100EENSt9enable_ifIXsr15benchmark_utilsE35device_test_enabled_for_warp_size_vIXT1_EEEvE4typeEPKT_PT0_PS3_.numbered_sgpr, 12
	.set _Z28segmented_warp_reduce_kernelIdhLj64ELj100EENSt9enable_ifIXsr15benchmark_utilsE35device_test_enabled_for_warp_size_vIXT1_EEEvE4typeEPKT_PT0_PS3_.num_named_barrier, 0
	.set _Z28segmented_warp_reduce_kernelIdhLj64ELj100EENSt9enable_ifIXsr15benchmark_utilsE35device_test_enabled_for_warp_size_vIXT1_EEEvE4typeEPKT_PT0_PS3_.private_seg_size, 0
	.set _Z28segmented_warp_reduce_kernelIdhLj64ELj100EENSt9enable_ifIXsr15benchmark_utilsE35device_test_enabled_for_warp_size_vIXT1_EEEvE4typeEPKT_PT0_PS3_.uses_vcc, 1
	.set _Z28segmented_warp_reduce_kernelIdhLj64ELj100EENSt9enable_ifIXsr15benchmark_utilsE35device_test_enabled_for_warp_size_vIXT1_EEEvE4typeEPKT_PT0_PS3_.uses_flat_scratch, 0
	.set _Z28segmented_warp_reduce_kernelIdhLj64ELj100EENSt9enable_ifIXsr15benchmark_utilsE35device_test_enabled_for_warp_size_vIXT1_EEEvE4typeEPKT_PT0_PS3_.has_dyn_sized_stack, 0
	.set _Z28segmented_warp_reduce_kernelIdhLj64ELj100EENSt9enable_ifIXsr15benchmark_utilsE35device_test_enabled_for_warp_size_vIXT1_EEEvE4typeEPKT_PT0_PS3_.has_recursion, 0
	.set _Z28segmented_warp_reduce_kernelIdhLj64ELj100EENSt9enable_ifIXsr15benchmark_utilsE35device_test_enabled_for_warp_size_vIXT1_EEEvE4typeEPKT_PT0_PS3_.has_indirect_call, 0
	.section	.AMDGPU.csdata,"",@progbits
; Kernel info:
; codeLenInByte = 688
; TotalNumSgprs: 16
; NumVgprs: 22
; ScratchSize: 0
; MemoryBound: 0
; FloatMode: 240
; IeeeMode: 1
; LDSByteSize: 0 bytes/workgroup (compile time only)
; SGPRBlocks: 1
; VGPRBlocks: 5
; NumSGPRsForWavesPerEU: 16
; NumVGPRsForWavesPerEU: 22
; Occupancy: 10
; WaveLimiterHint : 0
; COMPUTE_PGM_RSRC2:SCRATCH_EN: 0
; COMPUTE_PGM_RSRC2:USER_SGPR: 6
; COMPUTE_PGM_RSRC2:TRAP_HANDLER: 0
; COMPUTE_PGM_RSRC2:TGID_X_EN: 1
; COMPUTE_PGM_RSRC2:TGID_Y_EN: 0
; COMPUTE_PGM_RSRC2:TGID_Z_EN: 0
; COMPUTE_PGM_RSRC2:TIDIG_COMP_CNT: 0
	.section	.text._Z28segmented_warp_reduce_kernelIahLj15ELj100EENSt9enable_ifIXsr15benchmark_utilsE35device_test_enabled_for_warp_size_vIXT1_EEEvE4typeEPKT_PT0_PS3_,"axG",@progbits,_Z28segmented_warp_reduce_kernelIahLj15ELj100EENSt9enable_ifIXsr15benchmark_utilsE35device_test_enabled_for_warp_size_vIXT1_EEEvE4typeEPKT_PT0_PS3_,comdat
	.protected	_Z28segmented_warp_reduce_kernelIahLj15ELj100EENSt9enable_ifIXsr15benchmark_utilsE35device_test_enabled_for_warp_size_vIXT1_EEEvE4typeEPKT_PT0_PS3_ ; -- Begin function _Z28segmented_warp_reduce_kernelIahLj15ELj100EENSt9enable_ifIXsr15benchmark_utilsE35device_test_enabled_for_warp_size_vIXT1_EEEvE4typeEPKT_PT0_PS3_
	.globl	_Z28segmented_warp_reduce_kernelIahLj15ELj100EENSt9enable_ifIXsr15benchmark_utilsE35device_test_enabled_for_warp_size_vIXT1_EEEvE4typeEPKT_PT0_PS3_
	.p2align	8
	.type	_Z28segmented_warp_reduce_kernelIahLj15ELj100EENSt9enable_ifIXsr15benchmark_utilsE35device_test_enabled_for_warp_size_vIXT1_EEEvE4typeEPKT_PT0_PS3_,@function
_Z28segmented_warp_reduce_kernelIahLj15ELj100EENSt9enable_ifIXsr15benchmark_utilsE35device_test_enabled_for_warp_size_vIXT1_EEEvE4typeEPKT_PT0_PS3_: ; @_Z28segmented_warp_reduce_kernelIahLj15ELj100EENSt9enable_ifIXsr15benchmark_utilsE35device_test_enabled_for_warp_size_vIXT1_EEEvE4typeEPKT_PT0_PS3_
; %bb.0:
	s_load_dword s2, s[4:5], 0x24
	s_load_dwordx4 s[8:11], s[4:5], 0x0
	s_load_dwordx2 s[0:1], s[4:5], 0x10
	s_movk_i32 s4, 0x64
	s_waitcnt lgkmcnt(0)
	s_and_b32 s2, s2, 0xffff
	s_mul_i32 s6, s6, s2
	v_add_u32_e32 v3, s6, v0
	global_load_ubyte v9, v3, s[10:11]
	global_load_ubyte v2, v3, s[8:9]
	v_mbcnt_lo_u32_b32 v0, -1, 0
	s_mov_b32 s2, 0x11111112
	v_mbcnt_hi_u32_b32 v5, -1, v0
	v_mul_hi_u32 v4, v5, s2
	v_lshlrev_b64 v[0:1], v5, -1
	v_mul_u32_u24_e32 v4, 15, v4
	v_sub_u32_e32 v5, v5, v4
	v_add_u32_e32 v6, 2, v5
	v_add_u32_e32 v7, 4, v5
	;; [unrolled: 1-line block ×3, first 2 shown]
	s_waitcnt vmcnt(1)
	v_cmp_ne_u16_e32 vcc, 0, v9
	v_cndmask_b32_e64 v9, 0, 1, vcc
	s_branch .LBB56_2
.LBB56_1:                               ;   in Loop: Header=BB56_2 Depth=1
	s_or_b64 exec, exec, s[2:3]
	s_add_i32 s4, s4, -1
	s_cmp_eq_u32 s4, 0
	; wave barrier
	s_cbranch_scc1 .LBB56_10
.LBB56_2:                               ; =>This Inner Loop Header: Depth=1
	v_cmp_ne_u32_e32 vcc, 0, v9
	s_lshr_b64 s[2:3], vcc, 1
	v_and_b32_e32 v11, s3, v1
	v_and_b32_e32 v10, s2, v0
	v_lshrrev_b64 v[10:11], v4, v[10:11]
	s_waitcnt vmcnt(0)
	ds_write_b8 v5, v2
	v_or_b32_e32 v10, 0x4000, v10
	v_ffbl_b32_e32 v11, v11
	v_add_u32_e32 v11, 32, v11
	v_ffbl_b32_e32 v10, v10
	v_min_u32_e32 v10, v10, v11
	v_cmp_lt_u32_e32 vcc, v5, v10
	; wave barrier
	s_and_saveexec_b64 s[2:3], vcc
	s_cbranch_execz .LBB56_4
; %bb.3:                                ;   in Loop: Header=BB56_2 Depth=1
	ds_read_u8 v11, v5 offset:1
	s_waitcnt lgkmcnt(0)
	v_add_u16_e32 v2, v11, v2
.LBB56_4:                               ;   in Loop: Header=BB56_2 Depth=1
	s_or_b64 exec, exec, s[2:3]
	v_cmp_le_u32_e32 vcc, v6, v10
	; wave barrier
	ds_write_b8 v5, v2
	; wave barrier
	s_and_saveexec_b64 s[2:3], vcc
	s_cbranch_execz .LBB56_6
; %bb.5:                                ;   in Loop: Header=BB56_2 Depth=1
	ds_read_u8 v11, v5 offset:2
	s_waitcnt lgkmcnt(0)
	v_add_u16_e32 v2, v11, v2
.LBB56_6:                               ;   in Loop: Header=BB56_2 Depth=1
	s_or_b64 exec, exec, s[2:3]
	v_cmp_le_u32_e32 vcc, v7, v10
	; wave barrier
	ds_write_b8 v5, v2
	;; [unrolled: 12-line block ×3, first 2 shown]
	; wave barrier
	s_and_saveexec_b64 s[2:3], vcc
	s_cbranch_execz .LBB56_1
; %bb.9:                                ;   in Loop: Header=BB56_2 Depth=1
	ds_read_u8 v10, v5 offset:8
	s_waitcnt lgkmcnt(0)
	v_add_u16_e32 v2, v10, v2
	s_branch .LBB56_1
.LBB56_10:
	v_mov_b32_e32 v1, s1
	v_add_co_u32_e32 v0, vcc, s0, v3
	v_addc_co_u32_e32 v1, vcc, 0, v1, vcc
	global_store_byte v[0:1], v2, off
	s_endpgm
	.section	.rodata,"a",@progbits
	.p2align	6, 0x0
	.amdhsa_kernel _Z28segmented_warp_reduce_kernelIahLj15ELj100EENSt9enable_ifIXsr15benchmark_utilsE35device_test_enabled_for_warp_size_vIXT1_EEEvE4typeEPKT_PT0_PS3_
		.amdhsa_group_segment_fixed_size 15
		.amdhsa_private_segment_fixed_size 0
		.amdhsa_kernarg_size 280
		.amdhsa_user_sgpr_count 6
		.amdhsa_user_sgpr_private_segment_buffer 1
		.amdhsa_user_sgpr_dispatch_ptr 0
		.amdhsa_user_sgpr_queue_ptr 0
		.amdhsa_user_sgpr_kernarg_segment_ptr 1
		.amdhsa_user_sgpr_dispatch_id 0
		.amdhsa_user_sgpr_flat_scratch_init 0
		.amdhsa_user_sgpr_private_segment_size 0
		.amdhsa_uses_dynamic_stack 0
		.amdhsa_system_sgpr_private_segment_wavefront_offset 0
		.amdhsa_system_sgpr_workgroup_id_x 1
		.amdhsa_system_sgpr_workgroup_id_y 0
		.amdhsa_system_sgpr_workgroup_id_z 0
		.amdhsa_system_sgpr_workgroup_info 0
		.amdhsa_system_vgpr_workitem_id 0
		.amdhsa_next_free_vgpr 12
		.amdhsa_next_free_sgpr 12
		.amdhsa_reserve_vcc 1
		.amdhsa_reserve_flat_scratch 0
		.amdhsa_float_round_mode_32 0
		.amdhsa_float_round_mode_16_64 0
		.amdhsa_float_denorm_mode_32 3
		.amdhsa_float_denorm_mode_16_64 3
		.amdhsa_dx10_clamp 1
		.amdhsa_ieee_mode 1
		.amdhsa_fp16_overflow 0
		.amdhsa_exception_fp_ieee_invalid_op 0
		.amdhsa_exception_fp_denorm_src 0
		.amdhsa_exception_fp_ieee_div_zero 0
		.amdhsa_exception_fp_ieee_overflow 0
		.amdhsa_exception_fp_ieee_underflow 0
		.amdhsa_exception_fp_ieee_inexact 0
		.amdhsa_exception_int_div_zero 0
	.end_amdhsa_kernel
	.section	.text._Z28segmented_warp_reduce_kernelIahLj15ELj100EENSt9enable_ifIXsr15benchmark_utilsE35device_test_enabled_for_warp_size_vIXT1_EEEvE4typeEPKT_PT0_PS3_,"axG",@progbits,_Z28segmented_warp_reduce_kernelIahLj15ELj100EENSt9enable_ifIXsr15benchmark_utilsE35device_test_enabled_for_warp_size_vIXT1_EEEvE4typeEPKT_PT0_PS3_,comdat
.Lfunc_end56:
	.size	_Z28segmented_warp_reduce_kernelIahLj15ELj100EENSt9enable_ifIXsr15benchmark_utilsE35device_test_enabled_for_warp_size_vIXT1_EEEvE4typeEPKT_PT0_PS3_, .Lfunc_end56-_Z28segmented_warp_reduce_kernelIahLj15ELj100EENSt9enable_ifIXsr15benchmark_utilsE35device_test_enabled_for_warp_size_vIXT1_EEEvE4typeEPKT_PT0_PS3_
                                        ; -- End function
	.set _Z28segmented_warp_reduce_kernelIahLj15ELj100EENSt9enable_ifIXsr15benchmark_utilsE35device_test_enabled_for_warp_size_vIXT1_EEEvE4typeEPKT_PT0_PS3_.num_vgpr, 12
	.set _Z28segmented_warp_reduce_kernelIahLj15ELj100EENSt9enable_ifIXsr15benchmark_utilsE35device_test_enabled_for_warp_size_vIXT1_EEEvE4typeEPKT_PT0_PS3_.num_agpr, 0
	.set _Z28segmented_warp_reduce_kernelIahLj15ELj100EENSt9enable_ifIXsr15benchmark_utilsE35device_test_enabled_for_warp_size_vIXT1_EEEvE4typeEPKT_PT0_PS3_.numbered_sgpr, 12
	.set _Z28segmented_warp_reduce_kernelIahLj15ELj100EENSt9enable_ifIXsr15benchmark_utilsE35device_test_enabled_for_warp_size_vIXT1_EEEvE4typeEPKT_PT0_PS3_.num_named_barrier, 0
	.set _Z28segmented_warp_reduce_kernelIahLj15ELj100EENSt9enable_ifIXsr15benchmark_utilsE35device_test_enabled_for_warp_size_vIXT1_EEEvE4typeEPKT_PT0_PS3_.private_seg_size, 0
	.set _Z28segmented_warp_reduce_kernelIahLj15ELj100EENSt9enable_ifIXsr15benchmark_utilsE35device_test_enabled_for_warp_size_vIXT1_EEEvE4typeEPKT_PT0_PS3_.uses_vcc, 1
	.set _Z28segmented_warp_reduce_kernelIahLj15ELj100EENSt9enable_ifIXsr15benchmark_utilsE35device_test_enabled_for_warp_size_vIXT1_EEEvE4typeEPKT_PT0_PS3_.uses_flat_scratch, 0
	.set _Z28segmented_warp_reduce_kernelIahLj15ELj100EENSt9enable_ifIXsr15benchmark_utilsE35device_test_enabled_for_warp_size_vIXT1_EEEvE4typeEPKT_PT0_PS3_.has_dyn_sized_stack, 0
	.set _Z28segmented_warp_reduce_kernelIahLj15ELj100EENSt9enable_ifIXsr15benchmark_utilsE35device_test_enabled_for_warp_size_vIXT1_EEEvE4typeEPKT_PT0_PS3_.has_recursion, 0
	.set _Z28segmented_warp_reduce_kernelIahLj15ELj100EENSt9enable_ifIXsr15benchmark_utilsE35device_test_enabled_for_warp_size_vIXT1_EEEvE4typeEPKT_PT0_PS3_.has_indirect_call, 0
	.section	.AMDGPU.csdata,"",@progbits
; Kernel info:
; codeLenInByte = 396
; TotalNumSgprs: 16
; NumVgprs: 12
; ScratchSize: 0
; MemoryBound: 0
; FloatMode: 240
; IeeeMode: 1
; LDSByteSize: 15 bytes/workgroup (compile time only)
; SGPRBlocks: 1
; VGPRBlocks: 2
; NumSGPRsForWavesPerEU: 16
; NumVGPRsForWavesPerEU: 12
; Occupancy: 10
; WaveLimiterHint : 0
; COMPUTE_PGM_RSRC2:SCRATCH_EN: 0
; COMPUTE_PGM_RSRC2:USER_SGPR: 6
; COMPUTE_PGM_RSRC2:TRAP_HANDLER: 0
; COMPUTE_PGM_RSRC2:TGID_X_EN: 1
; COMPUTE_PGM_RSRC2:TGID_Y_EN: 0
; COMPUTE_PGM_RSRC2:TGID_Z_EN: 0
; COMPUTE_PGM_RSRC2:TIDIG_COMP_CNT: 0
	.section	.text._Z28segmented_warp_reduce_kernelIahLj16ELj100EENSt9enable_ifIXsr15benchmark_utilsE35device_test_enabled_for_warp_size_vIXT1_EEEvE4typeEPKT_PT0_PS3_,"axG",@progbits,_Z28segmented_warp_reduce_kernelIahLj16ELj100EENSt9enable_ifIXsr15benchmark_utilsE35device_test_enabled_for_warp_size_vIXT1_EEEvE4typeEPKT_PT0_PS3_,comdat
	.protected	_Z28segmented_warp_reduce_kernelIahLj16ELj100EENSt9enable_ifIXsr15benchmark_utilsE35device_test_enabled_for_warp_size_vIXT1_EEEvE4typeEPKT_PT0_PS3_ ; -- Begin function _Z28segmented_warp_reduce_kernelIahLj16ELj100EENSt9enable_ifIXsr15benchmark_utilsE35device_test_enabled_for_warp_size_vIXT1_EEEvE4typeEPKT_PT0_PS3_
	.globl	_Z28segmented_warp_reduce_kernelIahLj16ELj100EENSt9enable_ifIXsr15benchmark_utilsE35device_test_enabled_for_warp_size_vIXT1_EEEvE4typeEPKT_PT0_PS3_
	.p2align	8
	.type	_Z28segmented_warp_reduce_kernelIahLj16ELj100EENSt9enable_ifIXsr15benchmark_utilsE35device_test_enabled_for_warp_size_vIXT1_EEEvE4typeEPKT_PT0_PS3_,@function
_Z28segmented_warp_reduce_kernelIahLj16ELj100EENSt9enable_ifIXsr15benchmark_utilsE35device_test_enabled_for_warp_size_vIXT1_EEEvE4typeEPKT_PT0_PS3_: ; @_Z28segmented_warp_reduce_kernelIahLj16ELj100EENSt9enable_ifIXsr15benchmark_utilsE35device_test_enabled_for_warp_size_vIXT1_EEEvE4typeEPKT_PT0_PS3_
; %bb.0:
	s_load_dword s7, s[4:5], 0x24
	s_load_dwordx4 s[0:3], s[4:5], 0x0
	s_load_dwordx2 s[8:9], s[4:5], 0x10
	v_mbcnt_lo_u32_b32 v2, -1, 0
	v_mbcnt_hi_u32_b32 v8, -1, v2
	s_waitcnt lgkmcnt(0)
	s_and_b32 s4, s7, 0xffff
	s_mul_i32 s6, s6, s4
	v_add_u32_e32 v1, s6, v0
	global_load_ubyte v7, v1, s[2:3]
	global_load_ubyte v0, v1, s[0:1]
	v_and_b32_e32 v10, 15, v8
	v_cmp_ne_u32_e32 vcc, 15, v10
	v_addc_co_u32_e32 v3, vcc, 0, v8, vcc
	v_cmp_gt_u32_e32 vcc, 14, v10
	v_cndmask_b32_e64 v4, 0, 2, vcc
	v_cmp_gt_u32_e32 vcc, 12, v10
	v_cndmask_b32_e64 v13, 0, 4, vcc
	v_lshlrev_b64 v[5:6], v8, -1
	v_and_b32_e32 v9, 0x70, v8
	v_add_u32_e32 v11, 2, v10
	v_add_u32_e32 v12, 4, v10
	;; [unrolled: 1-line block ×3, first 2 shown]
	s_movk_i32 s10, 0x64
	v_lshl_or_b32 v2, v8, 2, 32
	v_lshlrev_b32_e32 v3, 2, v3
	v_add_lshl_u32 v4, v4, v8, 2
	s_waitcnt vmcnt(1)
	v_cmp_ne_u16_e32 vcc, 0, v7
	v_cndmask_b32_e64 v7, 0, 1, vcc
	v_cmp_ne_u32_e32 vcc, 0, v7
	s_lshr_b64 s[0:1], vcc, 1
	v_and_b32_e32 v6, s1, v6
	v_and_b32_e32 v5, s0, v5
	v_lshrrev_b64 v[6:7], v9, v[5:6]
	v_add_lshl_u32 v5, v13, v8, 2
	v_or_b32_e32 v6, 0x8000, v6
	v_ffbl_b32_e32 v7, v7
	v_add_u32_e32 v7, 32, v7
	v_ffbl_b32_e32 v6, v6
	v_min_u32_e32 v6, v6, v7
	v_cmp_lt_u32_e64 s[0:1], v10, v6
	v_cmp_gt_u32_e64 s[2:3], v11, v6
	v_cmp_gt_u32_e64 s[4:5], v12, v6
	v_cmp_le_u32_e64 s[6:7], v14, v6
.LBB57_1:                               ; =>This Inner Loop Header: Depth=1
	s_waitcnt vmcnt(0)
	v_and_b32_e32 v6, 0xff, v0
	ds_bpermute_b32 v7, v3, v6
	s_mov_b64 vcc, s[0:1]
	s_add_i32 s10, s10, -1
	s_cmp_eq_u32 s10, 0
	s_waitcnt lgkmcnt(0)
	v_add_u16_e32 v7, v0, v7
	v_cndmask_b32_sdwa v6, v6, v7, vcc dst_sel:DWORD dst_unused:UNUSED_PAD src0_sel:DWORD src1_sel:BYTE_0
	ds_bpermute_b32 v8, v4, v6
	v_cndmask_b32_e64 v7, v0, v7, s[0:1]
	s_mov_b64 vcc, s[2:3]
	s_waitcnt lgkmcnt(0)
	v_add_u16_e32 v8, v7, v8
	v_cndmask_b32_sdwa v6, v8, v6, vcc dst_sel:DWORD dst_unused:UNUSED_PAD src0_sel:BYTE_0 src1_sel:DWORD
	ds_bpermute_b32 v9, v5, v6
	v_cndmask_b32_e64 v7, v8, v7, s[2:3]
	s_mov_b64 vcc, s[4:5]
	s_waitcnt lgkmcnt(0)
	v_add_u16_e32 v8, v7, v9
	v_cndmask_b32_sdwa v6, v8, v6, vcc dst_sel:DWORD dst_unused:UNUSED_PAD src0_sel:BYTE_0 src1_sel:DWORD
	ds_bpermute_b32 v6, v2, v6
	v_cndmask_b32_e64 v7, v8, v7, s[4:5]
	s_waitcnt lgkmcnt(0)
	v_cndmask_b32_e64 v6, 0, v6, s[6:7]
	v_add_u16_e32 v6, v7, v6
	v_cndmask_b32_e64 v0, v0, v6, s[0:1]
	s_cbranch_scc0 .LBB57_1
; %bb.2:
	v_mov_b32_e32 v2, s9
	v_add_co_u32_e32 v1, vcc, s8, v1
	v_addc_co_u32_e32 v2, vcc, 0, v2, vcc
	global_store_byte v[1:2], v0, off
	s_endpgm
	.section	.rodata,"a",@progbits
	.p2align	6, 0x0
	.amdhsa_kernel _Z28segmented_warp_reduce_kernelIahLj16ELj100EENSt9enable_ifIXsr15benchmark_utilsE35device_test_enabled_for_warp_size_vIXT1_EEEvE4typeEPKT_PT0_PS3_
		.amdhsa_group_segment_fixed_size 0
		.amdhsa_private_segment_fixed_size 0
		.amdhsa_kernarg_size 280
		.amdhsa_user_sgpr_count 6
		.amdhsa_user_sgpr_private_segment_buffer 1
		.amdhsa_user_sgpr_dispatch_ptr 0
		.amdhsa_user_sgpr_queue_ptr 0
		.amdhsa_user_sgpr_kernarg_segment_ptr 1
		.amdhsa_user_sgpr_dispatch_id 0
		.amdhsa_user_sgpr_flat_scratch_init 0
		.amdhsa_user_sgpr_private_segment_size 0
		.amdhsa_uses_dynamic_stack 0
		.amdhsa_system_sgpr_private_segment_wavefront_offset 0
		.amdhsa_system_sgpr_workgroup_id_x 1
		.amdhsa_system_sgpr_workgroup_id_y 0
		.amdhsa_system_sgpr_workgroup_id_z 0
		.amdhsa_system_sgpr_workgroup_info 0
		.amdhsa_system_vgpr_workitem_id 0
		.amdhsa_next_free_vgpr 15
		.amdhsa_next_free_sgpr 11
		.amdhsa_reserve_vcc 1
		.amdhsa_reserve_flat_scratch 0
		.amdhsa_float_round_mode_32 0
		.amdhsa_float_round_mode_16_64 0
		.amdhsa_float_denorm_mode_32 3
		.amdhsa_float_denorm_mode_16_64 3
		.amdhsa_dx10_clamp 1
		.amdhsa_ieee_mode 1
		.amdhsa_fp16_overflow 0
		.amdhsa_exception_fp_ieee_invalid_op 0
		.amdhsa_exception_fp_denorm_src 0
		.amdhsa_exception_fp_ieee_div_zero 0
		.amdhsa_exception_fp_ieee_overflow 0
		.amdhsa_exception_fp_ieee_underflow 0
		.amdhsa_exception_fp_ieee_inexact 0
		.amdhsa_exception_int_div_zero 0
	.end_amdhsa_kernel
	.section	.text._Z28segmented_warp_reduce_kernelIahLj16ELj100EENSt9enable_ifIXsr15benchmark_utilsE35device_test_enabled_for_warp_size_vIXT1_EEEvE4typeEPKT_PT0_PS3_,"axG",@progbits,_Z28segmented_warp_reduce_kernelIahLj16ELj100EENSt9enable_ifIXsr15benchmark_utilsE35device_test_enabled_for_warp_size_vIXT1_EEEvE4typeEPKT_PT0_PS3_,comdat
.Lfunc_end57:
	.size	_Z28segmented_warp_reduce_kernelIahLj16ELj100EENSt9enable_ifIXsr15benchmark_utilsE35device_test_enabled_for_warp_size_vIXT1_EEEvE4typeEPKT_PT0_PS3_, .Lfunc_end57-_Z28segmented_warp_reduce_kernelIahLj16ELj100EENSt9enable_ifIXsr15benchmark_utilsE35device_test_enabled_for_warp_size_vIXT1_EEEvE4typeEPKT_PT0_PS3_
                                        ; -- End function
	.set _Z28segmented_warp_reduce_kernelIahLj16ELj100EENSt9enable_ifIXsr15benchmark_utilsE35device_test_enabled_for_warp_size_vIXT1_EEEvE4typeEPKT_PT0_PS3_.num_vgpr, 15
	.set _Z28segmented_warp_reduce_kernelIahLj16ELj100EENSt9enable_ifIXsr15benchmark_utilsE35device_test_enabled_for_warp_size_vIXT1_EEEvE4typeEPKT_PT0_PS3_.num_agpr, 0
	.set _Z28segmented_warp_reduce_kernelIahLj16ELj100EENSt9enable_ifIXsr15benchmark_utilsE35device_test_enabled_for_warp_size_vIXT1_EEEvE4typeEPKT_PT0_PS3_.numbered_sgpr, 11
	.set _Z28segmented_warp_reduce_kernelIahLj16ELj100EENSt9enable_ifIXsr15benchmark_utilsE35device_test_enabled_for_warp_size_vIXT1_EEEvE4typeEPKT_PT0_PS3_.num_named_barrier, 0
	.set _Z28segmented_warp_reduce_kernelIahLj16ELj100EENSt9enable_ifIXsr15benchmark_utilsE35device_test_enabled_for_warp_size_vIXT1_EEEvE4typeEPKT_PT0_PS3_.private_seg_size, 0
	.set _Z28segmented_warp_reduce_kernelIahLj16ELj100EENSt9enable_ifIXsr15benchmark_utilsE35device_test_enabled_for_warp_size_vIXT1_EEEvE4typeEPKT_PT0_PS3_.uses_vcc, 1
	.set _Z28segmented_warp_reduce_kernelIahLj16ELj100EENSt9enable_ifIXsr15benchmark_utilsE35device_test_enabled_for_warp_size_vIXT1_EEEvE4typeEPKT_PT0_PS3_.uses_flat_scratch, 0
	.set _Z28segmented_warp_reduce_kernelIahLj16ELj100EENSt9enable_ifIXsr15benchmark_utilsE35device_test_enabled_for_warp_size_vIXT1_EEEvE4typeEPKT_PT0_PS3_.has_dyn_sized_stack, 0
	.set _Z28segmented_warp_reduce_kernelIahLj16ELj100EENSt9enable_ifIXsr15benchmark_utilsE35device_test_enabled_for_warp_size_vIXT1_EEEvE4typeEPKT_PT0_PS3_.has_recursion, 0
	.set _Z28segmented_warp_reduce_kernelIahLj16ELj100EENSt9enable_ifIXsr15benchmark_utilsE35device_test_enabled_for_warp_size_vIXT1_EEEvE4typeEPKT_PT0_PS3_.has_indirect_call, 0
	.section	.AMDGPU.csdata,"",@progbits
; Kernel info:
; codeLenInByte = 456
; TotalNumSgprs: 15
; NumVgprs: 15
; ScratchSize: 0
; MemoryBound: 0
; FloatMode: 240
; IeeeMode: 1
; LDSByteSize: 0 bytes/workgroup (compile time only)
; SGPRBlocks: 1
; VGPRBlocks: 3
; NumSGPRsForWavesPerEU: 15
; NumVGPRsForWavesPerEU: 15
; Occupancy: 10
; WaveLimiterHint : 0
; COMPUTE_PGM_RSRC2:SCRATCH_EN: 0
; COMPUTE_PGM_RSRC2:USER_SGPR: 6
; COMPUTE_PGM_RSRC2:TRAP_HANDLER: 0
; COMPUTE_PGM_RSRC2:TGID_X_EN: 1
; COMPUTE_PGM_RSRC2:TGID_Y_EN: 0
; COMPUTE_PGM_RSRC2:TGID_Z_EN: 0
; COMPUTE_PGM_RSRC2:TIDIG_COMP_CNT: 0
	.section	.text._Z28segmented_warp_reduce_kernelIahLj31ELj100EENSt9enable_ifIXsr15benchmark_utilsE35device_test_enabled_for_warp_size_vIXT1_EEEvE4typeEPKT_PT0_PS3_,"axG",@progbits,_Z28segmented_warp_reduce_kernelIahLj31ELj100EENSt9enable_ifIXsr15benchmark_utilsE35device_test_enabled_for_warp_size_vIXT1_EEEvE4typeEPKT_PT0_PS3_,comdat
	.protected	_Z28segmented_warp_reduce_kernelIahLj31ELj100EENSt9enable_ifIXsr15benchmark_utilsE35device_test_enabled_for_warp_size_vIXT1_EEEvE4typeEPKT_PT0_PS3_ ; -- Begin function _Z28segmented_warp_reduce_kernelIahLj31ELj100EENSt9enable_ifIXsr15benchmark_utilsE35device_test_enabled_for_warp_size_vIXT1_EEEvE4typeEPKT_PT0_PS3_
	.globl	_Z28segmented_warp_reduce_kernelIahLj31ELj100EENSt9enable_ifIXsr15benchmark_utilsE35device_test_enabled_for_warp_size_vIXT1_EEEvE4typeEPKT_PT0_PS3_
	.p2align	8
	.type	_Z28segmented_warp_reduce_kernelIahLj31ELj100EENSt9enable_ifIXsr15benchmark_utilsE35device_test_enabled_for_warp_size_vIXT1_EEEvE4typeEPKT_PT0_PS3_,@function
_Z28segmented_warp_reduce_kernelIahLj31ELj100EENSt9enable_ifIXsr15benchmark_utilsE35device_test_enabled_for_warp_size_vIXT1_EEEvE4typeEPKT_PT0_PS3_: ; @_Z28segmented_warp_reduce_kernelIahLj31ELj100EENSt9enable_ifIXsr15benchmark_utilsE35device_test_enabled_for_warp_size_vIXT1_EEEvE4typeEPKT_PT0_PS3_
; %bb.0:
	s_load_dword s2, s[4:5], 0x24
	s_load_dwordx4 s[8:11], s[4:5], 0x0
	s_load_dwordx2 s[0:1], s[4:5], 0x10
	s_movk_i32 s4, 0x64
	s_waitcnt lgkmcnt(0)
	s_and_b32 s2, s2, 0xffff
	s_mul_i32 s6, s6, s2
	v_add_u32_e32 v3, s6, v0
	global_load_ubyte v10, v3, s[10:11]
	global_load_ubyte v2, v3, s[8:9]
	v_mbcnt_lo_u32_b32 v0, -1, 0
	s_mov_b32 s2, 0x8421085
	v_mbcnt_hi_u32_b32 v5, -1, v0
	v_mul_hi_u32 v4, v5, s2
	v_lshlrev_b64 v[0:1], v5, -1
	v_mul_u32_u24_e32 v4, 31, v4
	v_sub_u32_e32 v5, v5, v4
	v_add_u32_e32 v6, 2, v5
	v_add_u32_e32 v7, 4, v5
	;; [unrolled: 1-line block ×4, first 2 shown]
	s_waitcnt vmcnt(1)
	v_cmp_ne_u16_e32 vcc, 0, v10
	v_cndmask_b32_e64 v10, 0, 1, vcc
	s_branch .LBB58_2
.LBB58_1:                               ;   in Loop: Header=BB58_2 Depth=1
	s_or_b64 exec, exec, s[2:3]
	s_add_i32 s4, s4, -1
	s_cmp_eq_u32 s4, 0
	; wave barrier
	s_cbranch_scc1 .LBB58_12
.LBB58_2:                               ; =>This Inner Loop Header: Depth=1
	v_cmp_ne_u32_e32 vcc, 0, v10
	s_lshr_b64 s[2:3], vcc, 1
	v_and_b32_e32 v12, s3, v1
	v_and_b32_e32 v11, s2, v0
	v_lshrrev_b64 v[11:12], v4, v[11:12]
	s_waitcnt vmcnt(0)
	ds_write_b8 v5, v2
	v_or_b32_e32 v11, 2.0, v11
	v_ffbl_b32_e32 v12, v12
	v_add_u32_e32 v12, 32, v12
	v_ffbl_b32_e32 v11, v11
	v_min_u32_e32 v11, v11, v12
	v_cmp_lt_u32_e32 vcc, v5, v11
	; wave barrier
	s_and_saveexec_b64 s[2:3], vcc
	s_cbranch_execz .LBB58_4
; %bb.3:                                ;   in Loop: Header=BB58_2 Depth=1
	ds_read_u8 v12, v5 offset:1
	s_waitcnt lgkmcnt(0)
	v_add_u16_e32 v2, v12, v2
.LBB58_4:                               ;   in Loop: Header=BB58_2 Depth=1
	s_or_b64 exec, exec, s[2:3]
	v_cmp_le_u32_e32 vcc, v6, v11
	; wave barrier
	ds_write_b8 v5, v2
	; wave barrier
	s_and_saveexec_b64 s[2:3], vcc
	s_cbranch_execz .LBB58_6
; %bb.5:                                ;   in Loop: Header=BB58_2 Depth=1
	ds_read_u8 v12, v5 offset:2
	s_waitcnt lgkmcnt(0)
	v_add_u16_e32 v2, v12, v2
.LBB58_6:                               ;   in Loop: Header=BB58_2 Depth=1
	s_or_b64 exec, exec, s[2:3]
	v_cmp_le_u32_e32 vcc, v7, v11
	; wave barrier
	ds_write_b8 v5, v2
	;; [unrolled: 12-line block ×3, first 2 shown]
	; wave barrier
	s_and_saveexec_b64 s[2:3], vcc
	s_cbranch_execz .LBB58_10
; %bb.9:                                ;   in Loop: Header=BB58_2 Depth=1
	ds_read_u8 v12, v5 offset:8
	s_waitcnt lgkmcnt(0)
	v_add_u16_e32 v2, v12, v2
.LBB58_10:                              ;   in Loop: Header=BB58_2 Depth=1
	s_or_b64 exec, exec, s[2:3]
	v_cmp_le_u32_e32 vcc, v9, v11
	; wave barrier
	ds_write_b8 v5, v2
	; wave barrier
	s_and_saveexec_b64 s[2:3], vcc
	s_cbranch_execz .LBB58_1
; %bb.11:                               ;   in Loop: Header=BB58_2 Depth=1
	ds_read_u8 v11, v5 offset:16
	s_waitcnt lgkmcnt(0)
	v_add_u16_e32 v2, v11, v2
	s_branch .LBB58_1
.LBB58_12:
	v_mov_b32_e32 v1, s1
	v_add_co_u32_e32 v0, vcc, s0, v3
	v_addc_co_u32_e32 v1, vcc, 0, v1, vcc
	global_store_byte v[0:1], v2, off
	s_endpgm
	.section	.rodata,"a",@progbits
	.p2align	6, 0x0
	.amdhsa_kernel _Z28segmented_warp_reduce_kernelIahLj31ELj100EENSt9enable_ifIXsr15benchmark_utilsE35device_test_enabled_for_warp_size_vIXT1_EEEvE4typeEPKT_PT0_PS3_
		.amdhsa_group_segment_fixed_size 31
		.amdhsa_private_segment_fixed_size 0
		.amdhsa_kernarg_size 280
		.amdhsa_user_sgpr_count 6
		.amdhsa_user_sgpr_private_segment_buffer 1
		.amdhsa_user_sgpr_dispatch_ptr 0
		.amdhsa_user_sgpr_queue_ptr 0
		.amdhsa_user_sgpr_kernarg_segment_ptr 1
		.amdhsa_user_sgpr_dispatch_id 0
		.amdhsa_user_sgpr_flat_scratch_init 0
		.amdhsa_user_sgpr_private_segment_size 0
		.amdhsa_uses_dynamic_stack 0
		.amdhsa_system_sgpr_private_segment_wavefront_offset 0
		.amdhsa_system_sgpr_workgroup_id_x 1
		.amdhsa_system_sgpr_workgroup_id_y 0
		.amdhsa_system_sgpr_workgroup_id_z 0
		.amdhsa_system_sgpr_workgroup_info 0
		.amdhsa_system_vgpr_workitem_id 0
		.amdhsa_next_free_vgpr 13
		.amdhsa_next_free_sgpr 12
		.amdhsa_reserve_vcc 1
		.amdhsa_reserve_flat_scratch 0
		.amdhsa_float_round_mode_32 0
		.amdhsa_float_round_mode_16_64 0
		.amdhsa_float_denorm_mode_32 3
		.amdhsa_float_denorm_mode_16_64 3
		.amdhsa_dx10_clamp 1
		.amdhsa_ieee_mode 1
		.amdhsa_fp16_overflow 0
		.amdhsa_exception_fp_ieee_invalid_op 0
		.amdhsa_exception_fp_denorm_src 0
		.amdhsa_exception_fp_ieee_div_zero 0
		.amdhsa_exception_fp_ieee_overflow 0
		.amdhsa_exception_fp_ieee_underflow 0
		.amdhsa_exception_fp_ieee_inexact 0
		.amdhsa_exception_int_div_zero 0
	.end_amdhsa_kernel
	.section	.text._Z28segmented_warp_reduce_kernelIahLj31ELj100EENSt9enable_ifIXsr15benchmark_utilsE35device_test_enabled_for_warp_size_vIXT1_EEEvE4typeEPKT_PT0_PS3_,"axG",@progbits,_Z28segmented_warp_reduce_kernelIahLj31ELj100EENSt9enable_ifIXsr15benchmark_utilsE35device_test_enabled_for_warp_size_vIXT1_EEEvE4typeEPKT_PT0_PS3_,comdat
.Lfunc_end58:
	.size	_Z28segmented_warp_reduce_kernelIahLj31ELj100EENSt9enable_ifIXsr15benchmark_utilsE35device_test_enabled_for_warp_size_vIXT1_EEEvE4typeEPKT_PT0_PS3_, .Lfunc_end58-_Z28segmented_warp_reduce_kernelIahLj31ELj100EENSt9enable_ifIXsr15benchmark_utilsE35device_test_enabled_for_warp_size_vIXT1_EEEvE4typeEPKT_PT0_PS3_
                                        ; -- End function
	.set _Z28segmented_warp_reduce_kernelIahLj31ELj100EENSt9enable_ifIXsr15benchmark_utilsE35device_test_enabled_for_warp_size_vIXT1_EEEvE4typeEPKT_PT0_PS3_.num_vgpr, 13
	.set _Z28segmented_warp_reduce_kernelIahLj31ELj100EENSt9enable_ifIXsr15benchmark_utilsE35device_test_enabled_for_warp_size_vIXT1_EEEvE4typeEPKT_PT0_PS3_.num_agpr, 0
	.set _Z28segmented_warp_reduce_kernelIahLj31ELj100EENSt9enable_ifIXsr15benchmark_utilsE35device_test_enabled_for_warp_size_vIXT1_EEEvE4typeEPKT_PT0_PS3_.numbered_sgpr, 12
	.set _Z28segmented_warp_reduce_kernelIahLj31ELj100EENSt9enable_ifIXsr15benchmark_utilsE35device_test_enabled_for_warp_size_vIXT1_EEEvE4typeEPKT_PT0_PS3_.num_named_barrier, 0
	.set _Z28segmented_warp_reduce_kernelIahLj31ELj100EENSt9enable_ifIXsr15benchmark_utilsE35device_test_enabled_for_warp_size_vIXT1_EEEvE4typeEPKT_PT0_PS3_.private_seg_size, 0
	.set _Z28segmented_warp_reduce_kernelIahLj31ELj100EENSt9enable_ifIXsr15benchmark_utilsE35device_test_enabled_for_warp_size_vIXT1_EEEvE4typeEPKT_PT0_PS3_.uses_vcc, 1
	.set _Z28segmented_warp_reduce_kernelIahLj31ELj100EENSt9enable_ifIXsr15benchmark_utilsE35device_test_enabled_for_warp_size_vIXT1_EEEvE4typeEPKT_PT0_PS3_.uses_flat_scratch, 0
	.set _Z28segmented_warp_reduce_kernelIahLj31ELj100EENSt9enable_ifIXsr15benchmark_utilsE35device_test_enabled_for_warp_size_vIXT1_EEEvE4typeEPKT_PT0_PS3_.has_dyn_sized_stack, 0
	.set _Z28segmented_warp_reduce_kernelIahLj31ELj100EENSt9enable_ifIXsr15benchmark_utilsE35device_test_enabled_for_warp_size_vIXT1_EEEvE4typeEPKT_PT0_PS3_.has_recursion, 0
	.set _Z28segmented_warp_reduce_kernelIahLj31ELj100EENSt9enable_ifIXsr15benchmark_utilsE35device_test_enabled_for_warp_size_vIXT1_EEEvE4typeEPKT_PT0_PS3_.has_indirect_call, 0
	.section	.AMDGPU.csdata,"",@progbits
; Kernel info:
; codeLenInByte = 436
; TotalNumSgprs: 16
; NumVgprs: 13
; ScratchSize: 0
; MemoryBound: 0
; FloatMode: 240
; IeeeMode: 1
; LDSByteSize: 31 bytes/workgroup (compile time only)
; SGPRBlocks: 1
; VGPRBlocks: 3
; NumSGPRsForWavesPerEU: 16
; NumVGPRsForWavesPerEU: 13
; Occupancy: 10
; WaveLimiterHint : 0
; COMPUTE_PGM_RSRC2:SCRATCH_EN: 0
; COMPUTE_PGM_RSRC2:USER_SGPR: 6
; COMPUTE_PGM_RSRC2:TRAP_HANDLER: 0
; COMPUTE_PGM_RSRC2:TGID_X_EN: 1
; COMPUTE_PGM_RSRC2:TGID_Y_EN: 0
; COMPUTE_PGM_RSRC2:TGID_Z_EN: 0
; COMPUTE_PGM_RSRC2:TIDIG_COMP_CNT: 0
	.section	.text._Z28segmented_warp_reduce_kernelIahLj32ELj100EENSt9enable_ifIXsr15benchmark_utilsE35device_test_enabled_for_warp_size_vIXT1_EEEvE4typeEPKT_PT0_PS3_,"axG",@progbits,_Z28segmented_warp_reduce_kernelIahLj32ELj100EENSt9enable_ifIXsr15benchmark_utilsE35device_test_enabled_for_warp_size_vIXT1_EEEvE4typeEPKT_PT0_PS3_,comdat
	.protected	_Z28segmented_warp_reduce_kernelIahLj32ELj100EENSt9enable_ifIXsr15benchmark_utilsE35device_test_enabled_for_warp_size_vIXT1_EEEvE4typeEPKT_PT0_PS3_ ; -- Begin function _Z28segmented_warp_reduce_kernelIahLj32ELj100EENSt9enable_ifIXsr15benchmark_utilsE35device_test_enabled_for_warp_size_vIXT1_EEEvE4typeEPKT_PT0_PS3_
	.globl	_Z28segmented_warp_reduce_kernelIahLj32ELj100EENSt9enable_ifIXsr15benchmark_utilsE35device_test_enabled_for_warp_size_vIXT1_EEEvE4typeEPKT_PT0_PS3_
	.p2align	8
	.type	_Z28segmented_warp_reduce_kernelIahLj32ELj100EENSt9enable_ifIXsr15benchmark_utilsE35device_test_enabled_for_warp_size_vIXT1_EEEvE4typeEPKT_PT0_PS3_,@function
_Z28segmented_warp_reduce_kernelIahLj32ELj100EENSt9enable_ifIXsr15benchmark_utilsE35device_test_enabled_for_warp_size_vIXT1_EEEvE4typeEPKT_PT0_PS3_: ; @_Z28segmented_warp_reduce_kernelIahLj32ELj100EENSt9enable_ifIXsr15benchmark_utilsE35device_test_enabled_for_warp_size_vIXT1_EEEvE4typeEPKT_PT0_PS3_
; %bb.0:
	s_load_dword s7, s[4:5], 0x24
	s_load_dwordx4 s[0:3], s[4:5], 0x0
	s_load_dwordx2 s[8:9], s[4:5], 0x10
	v_mbcnt_lo_u32_b32 v2, -1, 0
	v_mbcnt_hi_u32_b32 v9, -1, v2
	s_waitcnt lgkmcnt(0)
	s_and_b32 s4, s7, 0xffff
	s_mul_i32 s6, s6, s4
	v_add_u32_e32 v1, s6, v0
	global_load_ubyte v8, v1, s[2:3]
	global_load_ubyte v0, v1, s[0:1]
	v_and_b32_e32 v11, 31, v9
	v_cmp_ne_u32_e32 vcc, 31, v11
	v_addc_co_u32_e32 v3, vcc, 0, v9, vcc
	v_cmp_gt_u32_e32 vcc, 30, v11
	v_cndmask_b32_e64 v4, 0, 2, vcc
	v_cmp_gt_u32_e32 vcc, 28, v11
	v_cndmask_b32_e64 v5, 0, 4, vcc
	;; [unrolled: 2-line block ×3, first 2 shown]
	v_lshlrev_b64 v[6:7], v9, -1
	v_and_b32_e32 v10, 0x60, v9
	v_add_u32_e32 v12, 2, v11
	v_add_u32_e32 v13, 4, v11
	;; [unrolled: 1-line block ×4, first 2 shown]
	s_movk_i32 s10, 0x64
	v_lshl_or_b32 v2, v9, 2, 64
	v_lshlrev_b32_e32 v3, 2, v3
	v_add_lshl_u32 v4, v4, v9, 2
	v_add_lshl_u32 v5, v5, v9, 2
	s_waitcnt vmcnt(1)
	v_cmp_ne_u16_e32 vcc, 0, v8
	v_cndmask_b32_e64 v8, 0, 1, vcc
	v_cmp_ne_u32_e32 vcc, 0, v8
	s_lshr_b64 s[0:1], vcc, 1
	v_and_b32_e32 v7, s1, v7
	v_and_b32_e32 v6, s0, v6
	v_lshrrev_b64 v[7:8], v10, v[6:7]
	v_add_lshl_u32 v6, v15, v9, 2
	v_or_b32_e32 v7, 0x80000000, v7
	v_ffbl_b32_e32 v8, v8
	v_add_u32_e32 v8, 32, v8
	v_ffbl_b32_e32 v7, v7
	v_min_u32_e32 v7, v7, v8
	v_cmp_lt_u32_e32 vcc, v11, v7
	v_cmp_gt_u32_e64 s[0:1], v12, v7
	v_cmp_gt_u32_e64 s[2:3], v13, v7
	;; [unrolled: 1-line block ×3, first 2 shown]
	v_cmp_le_u32_e64 s[6:7], v16, v7
.LBB59_1:                               ; =>This Inner Loop Header: Depth=1
	s_waitcnt vmcnt(0)
	v_and_b32_e32 v7, 0xff, v0
	ds_bpermute_b32 v8, v3, v7
	s_add_i32 s10, s10, -1
	s_cmp_eq_u32 s10, 0
	s_waitcnt lgkmcnt(0)
	v_add_u16_e32 v8, v0, v8
	v_and_b32_e32 v9, 0xff, v8
	v_cndmask_b32_e32 v7, v7, v9, vcc
	ds_bpermute_b32 v9, v4, v7
	v_cndmask_b32_e32 v8, v0, v8, vcc
	s_waitcnt lgkmcnt(0)
	v_add_u16_e32 v9, v8, v9
	v_and_b32_e32 v10, 0xff, v9
	v_cndmask_b32_e64 v7, v10, v7, s[0:1]
	ds_bpermute_b32 v10, v5, v7
	v_cndmask_b32_e64 v8, v9, v8, s[0:1]
	s_waitcnt lgkmcnt(0)
	v_add_u16_e32 v9, v8, v10
	v_and_b32_e32 v10, 0xff, v9
	v_cndmask_b32_e64 v7, v10, v7, s[2:3]
	ds_bpermute_b32 v10, v6, v7
	v_cndmask_b32_e64 v8, v9, v8, s[2:3]
	;; [unrolled: 6-line block ×3, first 2 shown]
	s_waitcnt lgkmcnt(0)
	v_cndmask_b32_e64 v7, 0, v7, s[6:7]
	v_add_u16_e32 v7, v8, v7
	v_cndmask_b32_e32 v0, v0, v7, vcc
	s_cbranch_scc0 .LBB59_1
; %bb.2:
	v_mov_b32_e32 v2, s9
	v_add_co_u32_e32 v1, vcc, s8, v1
	v_addc_co_u32_e32 v2, vcc, 0, v2, vcc
	global_store_byte v[1:2], v0, off
	s_endpgm
	.section	.rodata,"a",@progbits
	.p2align	6, 0x0
	.amdhsa_kernel _Z28segmented_warp_reduce_kernelIahLj32ELj100EENSt9enable_ifIXsr15benchmark_utilsE35device_test_enabled_for_warp_size_vIXT1_EEEvE4typeEPKT_PT0_PS3_
		.amdhsa_group_segment_fixed_size 0
		.amdhsa_private_segment_fixed_size 0
		.amdhsa_kernarg_size 280
		.amdhsa_user_sgpr_count 6
		.amdhsa_user_sgpr_private_segment_buffer 1
		.amdhsa_user_sgpr_dispatch_ptr 0
		.amdhsa_user_sgpr_queue_ptr 0
		.amdhsa_user_sgpr_kernarg_segment_ptr 1
		.amdhsa_user_sgpr_dispatch_id 0
		.amdhsa_user_sgpr_flat_scratch_init 0
		.amdhsa_user_sgpr_private_segment_size 0
		.amdhsa_uses_dynamic_stack 0
		.amdhsa_system_sgpr_private_segment_wavefront_offset 0
		.amdhsa_system_sgpr_workgroup_id_x 1
		.amdhsa_system_sgpr_workgroup_id_y 0
		.amdhsa_system_sgpr_workgroup_id_z 0
		.amdhsa_system_sgpr_workgroup_info 0
		.amdhsa_system_vgpr_workitem_id 0
		.amdhsa_next_free_vgpr 17
		.amdhsa_next_free_sgpr 11
		.amdhsa_reserve_vcc 1
		.amdhsa_reserve_flat_scratch 0
		.amdhsa_float_round_mode_32 0
		.amdhsa_float_round_mode_16_64 0
		.amdhsa_float_denorm_mode_32 3
		.amdhsa_float_denorm_mode_16_64 3
		.amdhsa_dx10_clamp 1
		.amdhsa_ieee_mode 1
		.amdhsa_fp16_overflow 0
		.amdhsa_exception_fp_ieee_invalid_op 0
		.amdhsa_exception_fp_denorm_src 0
		.amdhsa_exception_fp_ieee_div_zero 0
		.amdhsa_exception_fp_ieee_overflow 0
		.amdhsa_exception_fp_ieee_underflow 0
		.amdhsa_exception_fp_ieee_inexact 0
		.amdhsa_exception_int_div_zero 0
	.end_amdhsa_kernel
	.section	.text._Z28segmented_warp_reduce_kernelIahLj32ELj100EENSt9enable_ifIXsr15benchmark_utilsE35device_test_enabled_for_warp_size_vIXT1_EEEvE4typeEPKT_PT0_PS3_,"axG",@progbits,_Z28segmented_warp_reduce_kernelIahLj32ELj100EENSt9enable_ifIXsr15benchmark_utilsE35device_test_enabled_for_warp_size_vIXT1_EEEvE4typeEPKT_PT0_PS3_,comdat
.Lfunc_end59:
	.size	_Z28segmented_warp_reduce_kernelIahLj32ELj100EENSt9enable_ifIXsr15benchmark_utilsE35device_test_enabled_for_warp_size_vIXT1_EEEvE4typeEPKT_PT0_PS3_, .Lfunc_end59-_Z28segmented_warp_reduce_kernelIahLj32ELj100EENSt9enable_ifIXsr15benchmark_utilsE35device_test_enabled_for_warp_size_vIXT1_EEEvE4typeEPKT_PT0_PS3_
                                        ; -- End function
	.set _Z28segmented_warp_reduce_kernelIahLj32ELj100EENSt9enable_ifIXsr15benchmark_utilsE35device_test_enabled_for_warp_size_vIXT1_EEEvE4typeEPKT_PT0_PS3_.num_vgpr, 17
	.set _Z28segmented_warp_reduce_kernelIahLj32ELj100EENSt9enable_ifIXsr15benchmark_utilsE35device_test_enabled_for_warp_size_vIXT1_EEEvE4typeEPKT_PT0_PS3_.num_agpr, 0
	.set _Z28segmented_warp_reduce_kernelIahLj32ELj100EENSt9enable_ifIXsr15benchmark_utilsE35device_test_enabled_for_warp_size_vIXT1_EEEvE4typeEPKT_PT0_PS3_.numbered_sgpr, 11
	.set _Z28segmented_warp_reduce_kernelIahLj32ELj100EENSt9enable_ifIXsr15benchmark_utilsE35device_test_enabled_for_warp_size_vIXT1_EEEvE4typeEPKT_PT0_PS3_.num_named_barrier, 0
	.set _Z28segmented_warp_reduce_kernelIahLj32ELj100EENSt9enable_ifIXsr15benchmark_utilsE35device_test_enabled_for_warp_size_vIXT1_EEEvE4typeEPKT_PT0_PS3_.private_seg_size, 0
	.set _Z28segmented_warp_reduce_kernelIahLj32ELj100EENSt9enable_ifIXsr15benchmark_utilsE35device_test_enabled_for_warp_size_vIXT1_EEEvE4typeEPKT_PT0_PS3_.uses_vcc, 1
	.set _Z28segmented_warp_reduce_kernelIahLj32ELj100EENSt9enable_ifIXsr15benchmark_utilsE35device_test_enabled_for_warp_size_vIXT1_EEEvE4typeEPKT_PT0_PS3_.uses_flat_scratch, 0
	.set _Z28segmented_warp_reduce_kernelIahLj32ELj100EENSt9enable_ifIXsr15benchmark_utilsE35device_test_enabled_for_warp_size_vIXT1_EEEvE4typeEPKT_PT0_PS3_.has_dyn_sized_stack, 0
	.set _Z28segmented_warp_reduce_kernelIahLj32ELj100EENSt9enable_ifIXsr15benchmark_utilsE35device_test_enabled_for_warp_size_vIXT1_EEEvE4typeEPKT_PT0_PS3_.has_recursion, 0
	.set _Z28segmented_warp_reduce_kernelIahLj32ELj100EENSt9enable_ifIXsr15benchmark_utilsE35device_test_enabled_for_warp_size_vIXT1_EEEvE4typeEPKT_PT0_PS3_.has_indirect_call, 0
	.section	.AMDGPU.csdata,"",@progbits
; Kernel info:
; codeLenInByte = 524
; TotalNumSgprs: 15
; NumVgprs: 17
; ScratchSize: 0
; MemoryBound: 0
; FloatMode: 240
; IeeeMode: 1
; LDSByteSize: 0 bytes/workgroup (compile time only)
; SGPRBlocks: 1
; VGPRBlocks: 4
; NumSGPRsForWavesPerEU: 15
; NumVGPRsForWavesPerEU: 17
; Occupancy: 10
; WaveLimiterHint : 0
; COMPUTE_PGM_RSRC2:SCRATCH_EN: 0
; COMPUTE_PGM_RSRC2:USER_SGPR: 6
; COMPUTE_PGM_RSRC2:TRAP_HANDLER: 0
; COMPUTE_PGM_RSRC2:TGID_X_EN: 1
; COMPUTE_PGM_RSRC2:TGID_Y_EN: 0
; COMPUTE_PGM_RSRC2:TGID_Z_EN: 0
; COMPUTE_PGM_RSRC2:TIDIG_COMP_CNT: 0
	.section	.text._Z28segmented_warp_reduce_kernelIahLj37ELj100EENSt9enable_ifIXsr15benchmark_utilsE35device_test_enabled_for_warp_size_vIXT1_EEEvE4typeEPKT_PT0_PS3_,"axG",@progbits,_Z28segmented_warp_reduce_kernelIahLj37ELj100EENSt9enable_ifIXsr15benchmark_utilsE35device_test_enabled_for_warp_size_vIXT1_EEEvE4typeEPKT_PT0_PS3_,comdat
	.protected	_Z28segmented_warp_reduce_kernelIahLj37ELj100EENSt9enable_ifIXsr15benchmark_utilsE35device_test_enabled_for_warp_size_vIXT1_EEEvE4typeEPKT_PT0_PS3_ ; -- Begin function _Z28segmented_warp_reduce_kernelIahLj37ELj100EENSt9enable_ifIXsr15benchmark_utilsE35device_test_enabled_for_warp_size_vIXT1_EEEvE4typeEPKT_PT0_PS3_
	.globl	_Z28segmented_warp_reduce_kernelIahLj37ELj100EENSt9enable_ifIXsr15benchmark_utilsE35device_test_enabled_for_warp_size_vIXT1_EEEvE4typeEPKT_PT0_PS3_
	.p2align	8
	.type	_Z28segmented_warp_reduce_kernelIahLj37ELj100EENSt9enable_ifIXsr15benchmark_utilsE35device_test_enabled_for_warp_size_vIXT1_EEEvE4typeEPKT_PT0_PS3_,@function
_Z28segmented_warp_reduce_kernelIahLj37ELj100EENSt9enable_ifIXsr15benchmark_utilsE35device_test_enabled_for_warp_size_vIXT1_EEEvE4typeEPKT_PT0_PS3_: ; @_Z28segmented_warp_reduce_kernelIahLj37ELj100EENSt9enable_ifIXsr15benchmark_utilsE35device_test_enabled_for_warp_size_vIXT1_EEEvE4typeEPKT_PT0_PS3_
; %bb.0:
	s_load_dword s2, s[4:5], 0x24
	s_load_dwordx4 s[8:11], s[4:5], 0x0
	s_load_dwordx2 s[0:1], s[4:5], 0x10
	s_movk_i32 s4, 0x64
	s_waitcnt lgkmcnt(0)
	s_and_b32 s2, s2, 0xffff
	s_mul_i32 s6, s6, s2
	v_add_u32_e32 v3, s6, v0
	global_load_ubyte v11, v3, s[10:11]
	global_load_ubyte v2, v3, s[8:9]
	v_mbcnt_lo_u32_b32 v0, -1, 0
	s_mov_b32 s2, 0x6eb3e46
	v_mbcnt_hi_u32_b32 v5, -1, v0
	v_mul_hi_u32 v4, v5, s2
	v_lshlrev_b64 v[0:1], v5, -1
	v_mul_u32_u24_e32 v4, 37, v4
	v_sub_u32_e32 v5, v5, v4
	v_add_u32_e32 v6, 2, v5
	v_add_u32_e32 v7, 4, v5
	v_add_u32_e32 v8, 8, v5
	v_add_u32_e32 v9, 16, v5
	v_add_u32_e32 v10, 32, v5
	s_waitcnt vmcnt(1)
	v_cmp_ne_u16_e32 vcc, 0, v11
	v_cndmask_b32_e64 v11, 0, 1, vcc
	s_branch .LBB60_2
.LBB60_1:                               ;   in Loop: Header=BB60_2 Depth=1
	s_or_b64 exec, exec, s[2:3]
	s_add_i32 s4, s4, -1
	s_cmp_eq_u32 s4, 0
	; wave barrier
	s_cbranch_scc1 .LBB60_14
.LBB60_2:                               ; =>This Inner Loop Header: Depth=1
	v_cmp_ne_u32_e32 vcc, 0, v11
	s_lshr_b64 s[2:3], vcc, 1
	v_and_b32_e32 v13, s3, v1
	v_and_b32_e32 v12, s2, v0
	v_lshrrev_b64 v[12:13], v4, v[12:13]
	s_waitcnt vmcnt(0)
	ds_write_b8 v5, v2
	v_or_b32_e32 v13, 16, v13
	v_ffbl_b32_e32 v13, v13
	v_add_u32_e32 v13, 32, v13
	v_ffbl_b32_e32 v12, v12
	v_min_u32_e32 v12, v12, v13
	v_cmp_lt_u32_e32 vcc, v5, v12
	; wave barrier
	s_and_saveexec_b64 s[2:3], vcc
	s_cbranch_execz .LBB60_4
; %bb.3:                                ;   in Loop: Header=BB60_2 Depth=1
	ds_read_u8 v13, v5 offset:1
	s_waitcnt lgkmcnt(0)
	v_add_u16_e32 v2, v13, v2
.LBB60_4:                               ;   in Loop: Header=BB60_2 Depth=1
	s_or_b64 exec, exec, s[2:3]
	v_cmp_le_u32_e32 vcc, v6, v12
	; wave barrier
	ds_write_b8 v5, v2
	; wave barrier
	s_and_saveexec_b64 s[2:3], vcc
	s_cbranch_execz .LBB60_6
; %bb.5:                                ;   in Loop: Header=BB60_2 Depth=1
	ds_read_u8 v13, v5 offset:2
	s_waitcnt lgkmcnt(0)
	v_add_u16_e32 v2, v13, v2
.LBB60_6:                               ;   in Loop: Header=BB60_2 Depth=1
	s_or_b64 exec, exec, s[2:3]
	v_cmp_le_u32_e32 vcc, v7, v12
	; wave barrier
	ds_write_b8 v5, v2
	;; [unrolled: 12-line block ×3, first 2 shown]
	; wave barrier
	s_and_saveexec_b64 s[2:3], vcc
	s_cbranch_execz .LBB60_10
; %bb.9:                                ;   in Loop: Header=BB60_2 Depth=1
	ds_read_u8 v13, v5 offset:8
	s_waitcnt lgkmcnt(0)
	v_add_u16_e32 v2, v13, v2
.LBB60_10:                              ;   in Loop: Header=BB60_2 Depth=1
	s_or_b64 exec, exec, s[2:3]
	v_cmp_le_u32_e32 vcc, v9, v12
	; wave barrier
	ds_write_b8 v5, v2
	; wave barrier
	s_and_saveexec_b64 s[2:3], vcc
	s_cbranch_execz .LBB60_12
; %bb.11:                               ;   in Loop: Header=BB60_2 Depth=1
	ds_read_u8 v13, v5 offset:16
	s_waitcnt lgkmcnt(0)
	v_add_u16_e32 v2, v13, v2
.LBB60_12:                              ;   in Loop: Header=BB60_2 Depth=1
	s_or_b64 exec, exec, s[2:3]
	v_cmp_le_u32_e32 vcc, v10, v12
	; wave barrier
	ds_write_b8 v5, v2
	; wave barrier
	s_and_saveexec_b64 s[2:3], vcc
	s_cbranch_execz .LBB60_1
; %bb.13:                               ;   in Loop: Header=BB60_2 Depth=1
	ds_read_u8 v12, v5 offset:32
	s_waitcnt lgkmcnt(0)
	v_add_u16_e32 v2, v12, v2
	s_branch .LBB60_1
.LBB60_14:
	v_mov_b32_e32 v1, s1
	v_add_co_u32_e32 v0, vcc, s0, v3
	v_addc_co_u32_e32 v1, vcc, 0, v1, vcc
	global_store_byte v[0:1], v2, off
	s_endpgm
	.section	.rodata,"a",@progbits
	.p2align	6, 0x0
	.amdhsa_kernel _Z28segmented_warp_reduce_kernelIahLj37ELj100EENSt9enable_ifIXsr15benchmark_utilsE35device_test_enabled_for_warp_size_vIXT1_EEEvE4typeEPKT_PT0_PS3_
		.amdhsa_group_segment_fixed_size 37
		.amdhsa_private_segment_fixed_size 0
		.amdhsa_kernarg_size 280
		.amdhsa_user_sgpr_count 6
		.amdhsa_user_sgpr_private_segment_buffer 1
		.amdhsa_user_sgpr_dispatch_ptr 0
		.amdhsa_user_sgpr_queue_ptr 0
		.amdhsa_user_sgpr_kernarg_segment_ptr 1
		.amdhsa_user_sgpr_dispatch_id 0
		.amdhsa_user_sgpr_flat_scratch_init 0
		.amdhsa_user_sgpr_private_segment_size 0
		.amdhsa_uses_dynamic_stack 0
		.amdhsa_system_sgpr_private_segment_wavefront_offset 0
		.amdhsa_system_sgpr_workgroup_id_x 1
		.amdhsa_system_sgpr_workgroup_id_y 0
		.amdhsa_system_sgpr_workgroup_id_z 0
		.amdhsa_system_sgpr_workgroup_info 0
		.amdhsa_system_vgpr_workitem_id 0
		.amdhsa_next_free_vgpr 14
		.amdhsa_next_free_sgpr 12
		.amdhsa_reserve_vcc 1
		.amdhsa_reserve_flat_scratch 0
		.amdhsa_float_round_mode_32 0
		.amdhsa_float_round_mode_16_64 0
		.amdhsa_float_denorm_mode_32 3
		.amdhsa_float_denorm_mode_16_64 3
		.amdhsa_dx10_clamp 1
		.amdhsa_ieee_mode 1
		.amdhsa_fp16_overflow 0
		.amdhsa_exception_fp_ieee_invalid_op 0
		.amdhsa_exception_fp_denorm_src 0
		.amdhsa_exception_fp_ieee_div_zero 0
		.amdhsa_exception_fp_ieee_overflow 0
		.amdhsa_exception_fp_ieee_underflow 0
		.amdhsa_exception_fp_ieee_inexact 0
		.amdhsa_exception_int_div_zero 0
	.end_amdhsa_kernel
	.section	.text._Z28segmented_warp_reduce_kernelIahLj37ELj100EENSt9enable_ifIXsr15benchmark_utilsE35device_test_enabled_for_warp_size_vIXT1_EEEvE4typeEPKT_PT0_PS3_,"axG",@progbits,_Z28segmented_warp_reduce_kernelIahLj37ELj100EENSt9enable_ifIXsr15benchmark_utilsE35device_test_enabled_for_warp_size_vIXT1_EEEvE4typeEPKT_PT0_PS3_,comdat
.Lfunc_end60:
	.size	_Z28segmented_warp_reduce_kernelIahLj37ELj100EENSt9enable_ifIXsr15benchmark_utilsE35device_test_enabled_for_warp_size_vIXT1_EEEvE4typeEPKT_PT0_PS3_, .Lfunc_end60-_Z28segmented_warp_reduce_kernelIahLj37ELj100EENSt9enable_ifIXsr15benchmark_utilsE35device_test_enabled_for_warp_size_vIXT1_EEEvE4typeEPKT_PT0_PS3_
                                        ; -- End function
	.set _Z28segmented_warp_reduce_kernelIahLj37ELj100EENSt9enable_ifIXsr15benchmark_utilsE35device_test_enabled_for_warp_size_vIXT1_EEEvE4typeEPKT_PT0_PS3_.num_vgpr, 14
	.set _Z28segmented_warp_reduce_kernelIahLj37ELj100EENSt9enable_ifIXsr15benchmark_utilsE35device_test_enabled_for_warp_size_vIXT1_EEEvE4typeEPKT_PT0_PS3_.num_agpr, 0
	.set _Z28segmented_warp_reduce_kernelIahLj37ELj100EENSt9enable_ifIXsr15benchmark_utilsE35device_test_enabled_for_warp_size_vIXT1_EEEvE4typeEPKT_PT0_PS3_.numbered_sgpr, 12
	.set _Z28segmented_warp_reduce_kernelIahLj37ELj100EENSt9enable_ifIXsr15benchmark_utilsE35device_test_enabled_for_warp_size_vIXT1_EEEvE4typeEPKT_PT0_PS3_.num_named_barrier, 0
	.set _Z28segmented_warp_reduce_kernelIahLj37ELj100EENSt9enable_ifIXsr15benchmark_utilsE35device_test_enabled_for_warp_size_vIXT1_EEEvE4typeEPKT_PT0_PS3_.private_seg_size, 0
	.set _Z28segmented_warp_reduce_kernelIahLj37ELj100EENSt9enable_ifIXsr15benchmark_utilsE35device_test_enabled_for_warp_size_vIXT1_EEEvE4typeEPKT_PT0_PS3_.uses_vcc, 1
	.set _Z28segmented_warp_reduce_kernelIahLj37ELj100EENSt9enable_ifIXsr15benchmark_utilsE35device_test_enabled_for_warp_size_vIXT1_EEEvE4typeEPKT_PT0_PS3_.uses_flat_scratch, 0
	.set _Z28segmented_warp_reduce_kernelIahLj37ELj100EENSt9enable_ifIXsr15benchmark_utilsE35device_test_enabled_for_warp_size_vIXT1_EEEvE4typeEPKT_PT0_PS3_.has_dyn_sized_stack, 0
	.set _Z28segmented_warp_reduce_kernelIahLj37ELj100EENSt9enable_ifIXsr15benchmark_utilsE35device_test_enabled_for_warp_size_vIXT1_EEEvE4typeEPKT_PT0_PS3_.has_recursion, 0
	.set _Z28segmented_warp_reduce_kernelIahLj37ELj100EENSt9enable_ifIXsr15benchmark_utilsE35device_test_enabled_for_warp_size_vIXT1_EEEvE4typeEPKT_PT0_PS3_.has_indirect_call, 0
	.section	.AMDGPU.csdata,"",@progbits
; Kernel info:
; codeLenInByte = 480
; TotalNumSgprs: 16
; NumVgprs: 14
; ScratchSize: 0
; MemoryBound: 0
; FloatMode: 240
; IeeeMode: 1
; LDSByteSize: 37 bytes/workgroup (compile time only)
; SGPRBlocks: 1
; VGPRBlocks: 3
; NumSGPRsForWavesPerEU: 16
; NumVGPRsForWavesPerEU: 14
; Occupancy: 10
; WaveLimiterHint : 0
; COMPUTE_PGM_RSRC2:SCRATCH_EN: 0
; COMPUTE_PGM_RSRC2:USER_SGPR: 6
; COMPUTE_PGM_RSRC2:TRAP_HANDLER: 0
; COMPUTE_PGM_RSRC2:TGID_X_EN: 1
; COMPUTE_PGM_RSRC2:TGID_Y_EN: 0
; COMPUTE_PGM_RSRC2:TGID_Z_EN: 0
; COMPUTE_PGM_RSRC2:TIDIG_COMP_CNT: 0
	.section	.text._Z28segmented_warp_reduce_kernelIahLj61ELj100EENSt9enable_ifIXsr15benchmark_utilsE35device_test_enabled_for_warp_size_vIXT1_EEEvE4typeEPKT_PT0_PS3_,"axG",@progbits,_Z28segmented_warp_reduce_kernelIahLj61ELj100EENSt9enable_ifIXsr15benchmark_utilsE35device_test_enabled_for_warp_size_vIXT1_EEEvE4typeEPKT_PT0_PS3_,comdat
	.protected	_Z28segmented_warp_reduce_kernelIahLj61ELj100EENSt9enable_ifIXsr15benchmark_utilsE35device_test_enabled_for_warp_size_vIXT1_EEEvE4typeEPKT_PT0_PS3_ ; -- Begin function _Z28segmented_warp_reduce_kernelIahLj61ELj100EENSt9enable_ifIXsr15benchmark_utilsE35device_test_enabled_for_warp_size_vIXT1_EEEvE4typeEPKT_PT0_PS3_
	.globl	_Z28segmented_warp_reduce_kernelIahLj61ELj100EENSt9enable_ifIXsr15benchmark_utilsE35device_test_enabled_for_warp_size_vIXT1_EEEvE4typeEPKT_PT0_PS3_
	.p2align	8
	.type	_Z28segmented_warp_reduce_kernelIahLj61ELj100EENSt9enable_ifIXsr15benchmark_utilsE35device_test_enabled_for_warp_size_vIXT1_EEEvE4typeEPKT_PT0_PS3_,@function
_Z28segmented_warp_reduce_kernelIahLj61ELj100EENSt9enable_ifIXsr15benchmark_utilsE35device_test_enabled_for_warp_size_vIXT1_EEEvE4typeEPKT_PT0_PS3_: ; @_Z28segmented_warp_reduce_kernelIahLj61ELj100EENSt9enable_ifIXsr15benchmark_utilsE35device_test_enabled_for_warp_size_vIXT1_EEEvE4typeEPKT_PT0_PS3_
; %bb.0:
	s_load_dword s2, s[4:5], 0x24
	s_load_dwordx4 s[8:11], s[4:5], 0x0
	s_load_dwordx2 s[0:1], s[4:5], 0x10
	s_movk_i32 s4, 0x64
	s_waitcnt lgkmcnt(0)
	s_and_b32 s2, s2, 0xffff
	s_mul_i32 s6, s6, s2
	v_add_u32_e32 v3, s6, v0
	global_load_ubyte v11, v3, s[10:11]
	global_load_ubyte v2, v3, s[8:9]
	v_mbcnt_lo_u32_b32 v0, -1, 0
	s_mov_b32 s2, 0x4325c54
	v_mbcnt_hi_u32_b32 v5, -1, v0
	v_mul_hi_u32 v4, v5, s2
	v_lshlrev_b64 v[0:1], v5, -1
	v_mul_u32_u24_e32 v4, 61, v4
	v_sub_u32_e32 v5, v5, v4
	v_add_u32_e32 v6, 2, v5
	v_add_u32_e32 v7, 4, v5
	;; [unrolled: 1-line block ×5, first 2 shown]
	s_waitcnt vmcnt(1)
	v_cmp_ne_u16_e32 vcc, 0, v11
	v_cndmask_b32_e64 v11, 0, 1, vcc
	s_branch .LBB61_2
.LBB61_1:                               ;   in Loop: Header=BB61_2 Depth=1
	s_or_b64 exec, exec, s[2:3]
	s_add_i32 s4, s4, -1
	s_cmp_eq_u32 s4, 0
	; wave barrier
	s_cbranch_scc1 .LBB61_14
.LBB61_2:                               ; =>This Inner Loop Header: Depth=1
	v_cmp_ne_u32_e32 vcc, 0, v11
	s_lshr_b64 s[2:3], vcc, 1
	v_and_b32_e32 v13, s3, v1
	v_and_b32_e32 v12, s2, v0
	v_lshrrev_b64 v[12:13], v4, v[12:13]
	s_waitcnt vmcnt(0)
	ds_write_b8 v5, v2
	v_or_b32_e32 v13, 0x10000000, v13
	v_ffbl_b32_e32 v13, v13
	v_add_u32_e32 v13, 32, v13
	v_ffbl_b32_e32 v12, v12
	v_min_u32_e32 v12, v12, v13
	v_cmp_lt_u32_e32 vcc, v5, v12
	; wave barrier
	s_and_saveexec_b64 s[2:3], vcc
	s_cbranch_execz .LBB61_4
; %bb.3:                                ;   in Loop: Header=BB61_2 Depth=1
	ds_read_u8 v13, v5 offset:1
	s_waitcnt lgkmcnt(0)
	v_add_u16_e32 v2, v13, v2
.LBB61_4:                               ;   in Loop: Header=BB61_2 Depth=1
	s_or_b64 exec, exec, s[2:3]
	v_cmp_le_u32_e32 vcc, v6, v12
	; wave barrier
	ds_write_b8 v5, v2
	; wave barrier
	s_and_saveexec_b64 s[2:3], vcc
	s_cbranch_execz .LBB61_6
; %bb.5:                                ;   in Loop: Header=BB61_2 Depth=1
	ds_read_u8 v13, v5 offset:2
	s_waitcnt lgkmcnt(0)
	v_add_u16_e32 v2, v13, v2
.LBB61_6:                               ;   in Loop: Header=BB61_2 Depth=1
	s_or_b64 exec, exec, s[2:3]
	v_cmp_le_u32_e32 vcc, v7, v12
	; wave barrier
	ds_write_b8 v5, v2
	;; [unrolled: 12-line block ×3, first 2 shown]
	; wave barrier
	s_and_saveexec_b64 s[2:3], vcc
	s_cbranch_execz .LBB61_10
; %bb.9:                                ;   in Loop: Header=BB61_2 Depth=1
	ds_read_u8 v13, v5 offset:8
	s_waitcnt lgkmcnt(0)
	v_add_u16_e32 v2, v13, v2
.LBB61_10:                              ;   in Loop: Header=BB61_2 Depth=1
	s_or_b64 exec, exec, s[2:3]
	v_cmp_le_u32_e32 vcc, v9, v12
	; wave barrier
	ds_write_b8 v5, v2
	; wave barrier
	s_and_saveexec_b64 s[2:3], vcc
	s_cbranch_execz .LBB61_12
; %bb.11:                               ;   in Loop: Header=BB61_2 Depth=1
	ds_read_u8 v13, v5 offset:16
	s_waitcnt lgkmcnt(0)
	v_add_u16_e32 v2, v13, v2
.LBB61_12:                              ;   in Loop: Header=BB61_2 Depth=1
	s_or_b64 exec, exec, s[2:3]
	v_cmp_le_u32_e32 vcc, v10, v12
	; wave barrier
	ds_write_b8 v5, v2
	; wave barrier
	s_and_saveexec_b64 s[2:3], vcc
	s_cbranch_execz .LBB61_1
; %bb.13:                               ;   in Loop: Header=BB61_2 Depth=1
	ds_read_u8 v12, v5 offset:32
	s_waitcnt lgkmcnt(0)
	v_add_u16_e32 v2, v12, v2
	s_branch .LBB61_1
.LBB61_14:
	v_mov_b32_e32 v1, s1
	v_add_co_u32_e32 v0, vcc, s0, v3
	v_addc_co_u32_e32 v1, vcc, 0, v1, vcc
	global_store_byte v[0:1], v2, off
	s_endpgm
	.section	.rodata,"a",@progbits
	.p2align	6, 0x0
	.amdhsa_kernel _Z28segmented_warp_reduce_kernelIahLj61ELj100EENSt9enable_ifIXsr15benchmark_utilsE35device_test_enabled_for_warp_size_vIXT1_EEEvE4typeEPKT_PT0_PS3_
		.amdhsa_group_segment_fixed_size 61
		.amdhsa_private_segment_fixed_size 0
		.amdhsa_kernarg_size 280
		.amdhsa_user_sgpr_count 6
		.amdhsa_user_sgpr_private_segment_buffer 1
		.amdhsa_user_sgpr_dispatch_ptr 0
		.amdhsa_user_sgpr_queue_ptr 0
		.amdhsa_user_sgpr_kernarg_segment_ptr 1
		.amdhsa_user_sgpr_dispatch_id 0
		.amdhsa_user_sgpr_flat_scratch_init 0
		.amdhsa_user_sgpr_private_segment_size 0
		.amdhsa_uses_dynamic_stack 0
		.amdhsa_system_sgpr_private_segment_wavefront_offset 0
		.amdhsa_system_sgpr_workgroup_id_x 1
		.amdhsa_system_sgpr_workgroup_id_y 0
		.amdhsa_system_sgpr_workgroup_id_z 0
		.amdhsa_system_sgpr_workgroup_info 0
		.amdhsa_system_vgpr_workitem_id 0
		.amdhsa_next_free_vgpr 14
		.amdhsa_next_free_sgpr 12
		.amdhsa_reserve_vcc 1
		.amdhsa_reserve_flat_scratch 0
		.amdhsa_float_round_mode_32 0
		.amdhsa_float_round_mode_16_64 0
		.amdhsa_float_denorm_mode_32 3
		.amdhsa_float_denorm_mode_16_64 3
		.amdhsa_dx10_clamp 1
		.amdhsa_ieee_mode 1
		.amdhsa_fp16_overflow 0
		.amdhsa_exception_fp_ieee_invalid_op 0
		.amdhsa_exception_fp_denorm_src 0
		.amdhsa_exception_fp_ieee_div_zero 0
		.amdhsa_exception_fp_ieee_overflow 0
		.amdhsa_exception_fp_ieee_underflow 0
		.amdhsa_exception_fp_ieee_inexact 0
		.amdhsa_exception_int_div_zero 0
	.end_amdhsa_kernel
	.section	.text._Z28segmented_warp_reduce_kernelIahLj61ELj100EENSt9enable_ifIXsr15benchmark_utilsE35device_test_enabled_for_warp_size_vIXT1_EEEvE4typeEPKT_PT0_PS3_,"axG",@progbits,_Z28segmented_warp_reduce_kernelIahLj61ELj100EENSt9enable_ifIXsr15benchmark_utilsE35device_test_enabled_for_warp_size_vIXT1_EEEvE4typeEPKT_PT0_PS3_,comdat
.Lfunc_end61:
	.size	_Z28segmented_warp_reduce_kernelIahLj61ELj100EENSt9enable_ifIXsr15benchmark_utilsE35device_test_enabled_for_warp_size_vIXT1_EEEvE4typeEPKT_PT0_PS3_, .Lfunc_end61-_Z28segmented_warp_reduce_kernelIahLj61ELj100EENSt9enable_ifIXsr15benchmark_utilsE35device_test_enabled_for_warp_size_vIXT1_EEEvE4typeEPKT_PT0_PS3_
                                        ; -- End function
	.set _Z28segmented_warp_reduce_kernelIahLj61ELj100EENSt9enable_ifIXsr15benchmark_utilsE35device_test_enabled_for_warp_size_vIXT1_EEEvE4typeEPKT_PT0_PS3_.num_vgpr, 14
	.set _Z28segmented_warp_reduce_kernelIahLj61ELj100EENSt9enable_ifIXsr15benchmark_utilsE35device_test_enabled_for_warp_size_vIXT1_EEEvE4typeEPKT_PT0_PS3_.num_agpr, 0
	.set _Z28segmented_warp_reduce_kernelIahLj61ELj100EENSt9enable_ifIXsr15benchmark_utilsE35device_test_enabled_for_warp_size_vIXT1_EEEvE4typeEPKT_PT0_PS3_.numbered_sgpr, 12
	.set _Z28segmented_warp_reduce_kernelIahLj61ELj100EENSt9enable_ifIXsr15benchmark_utilsE35device_test_enabled_for_warp_size_vIXT1_EEEvE4typeEPKT_PT0_PS3_.num_named_barrier, 0
	.set _Z28segmented_warp_reduce_kernelIahLj61ELj100EENSt9enable_ifIXsr15benchmark_utilsE35device_test_enabled_for_warp_size_vIXT1_EEEvE4typeEPKT_PT0_PS3_.private_seg_size, 0
	.set _Z28segmented_warp_reduce_kernelIahLj61ELj100EENSt9enable_ifIXsr15benchmark_utilsE35device_test_enabled_for_warp_size_vIXT1_EEEvE4typeEPKT_PT0_PS3_.uses_vcc, 1
	.set _Z28segmented_warp_reduce_kernelIahLj61ELj100EENSt9enable_ifIXsr15benchmark_utilsE35device_test_enabled_for_warp_size_vIXT1_EEEvE4typeEPKT_PT0_PS3_.uses_flat_scratch, 0
	.set _Z28segmented_warp_reduce_kernelIahLj61ELj100EENSt9enable_ifIXsr15benchmark_utilsE35device_test_enabled_for_warp_size_vIXT1_EEEvE4typeEPKT_PT0_PS3_.has_dyn_sized_stack, 0
	.set _Z28segmented_warp_reduce_kernelIahLj61ELj100EENSt9enable_ifIXsr15benchmark_utilsE35device_test_enabled_for_warp_size_vIXT1_EEEvE4typeEPKT_PT0_PS3_.has_recursion, 0
	.set _Z28segmented_warp_reduce_kernelIahLj61ELj100EENSt9enable_ifIXsr15benchmark_utilsE35device_test_enabled_for_warp_size_vIXT1_EEEvE4typeEPKT_PT0_PS3_.has_indirect_call, 0
	.section	.AMDGPU.csdata,"",@progbits
; Kernel info:
; codeLenInByte = 484
; TotalNumSgprs: 16
; NumVgprs: 14
; ScratchSize: 0
; MemoryBound: 0
; FloatMode: 240
; IeeeMode: 1
; LDSByteSize: 61 bytes/workgroup (compile time only)
; SGPRBlocks: 1
; VGPRBlocks: 3
; NumSGPRsForWavesPerEU: 16
; NumVGPRsForWavesPerEU: 14
; Occupancy: 10
; WaveLimiterHint : 0
; COMPUTE_PGM_RSRC2:SCRATCH_EN: 0
; COMPUTE_PGM_RSRC2:USER_SGPR: 6
; COMPUTE_PGM_RSRC2:TRAP_HANDLER: 0
; COMPUTE_PGM_RSRC2:TGID_X_EN: 1
; COMPUTE_PGM_RSRC2:TGID_Y_EN: 0
; COMPUTE_PGM_RSRC2:TGID_Z_EN: 0
; COMPUTE_PGM_RSRC2:TIDIG_COMP_CNT: 0
	.section	.text._Z28segmented_warp_reduce_kernelIahLj64ELj100EENSt9enable_ifIXsr15benchmark_utilsE35device_test_enabled_for_warp_size_vIXT1_EEEvE4typeEPKT_PT0_PS3_,"axG",@progbits,_Z28segmented_warp_reduce_kernelIahLj64ELj100EENSt9enable_ifIXsr15benchmark_utilsE35device_test_enabled_for_warp_size_vIXT1_EEEvE4typeEPKT_PT0_PS3_,comdat
	.protected	_Z28segmented_warp_reduce_kernelIahLj64ELj100EENSt9enable_ifIXsr15benchmark_utilsE35device_test_enabled_for_warp_size_vIXT1_EEEvE4typeEPKT_PT0_PS3_ ; -- Begin function _Z28segmented_warp_reduce_kernelIahLj64ELj100EENSt9enable_ifIXsr15benchmark_utilsE35device_test_enabled_for_warp_size_vIXT1_EEEvE4typeEPKT_PT0_PS3_
	.globl	_Z28segmented_warp_reduce_kernelIahLj64ELj100EENSt9enable_ifIXsr15benchmark_utilsE35device_test_enabled_for_warp_size_vIXT1_EEEvE4typeEPKT_PT0_PS3_
	.p2align	8
	.type	_Z28segmented_warp_reduce_kernelIahLj64ELj100EENSt9enable_ifIXsr15benchmark_utilsE35device_test_enabled_for_warp_size_vIXT1_EEEvE4typeEPKT_PT0_PS3_,@function
_Z28segmented_warp_reduce_kernelIahLj64ELj100EENSt9enable_ifIXsr15benchmark_utilsE35device_test_enabled_for_warp_size_vIXT1_EEEvE4typeEPKT_PT0_PS3_: ; @_Z28segmented_warp_reduce_kernelIahLj64ELj100EENSt9enable_ifIXsr15benchmark_utilsE35device_test_enabled_for_warp_size_vIXT1_EEEvE4typeEPKT_PT0_PS3_
; %bb.0:
	s_load_dword s7, s[4:5], 0x24
	s_load_dwordx4 s[0:3], s[4:5], 0x0
	s_load_dwordx2 s[12:13], s[4:5], 0x10
	v_mbcnt_lo_u32_b32 v2, -1, 0
	v_mbcnt_hi_u32_b32 v7, -1, v2
	s_waitcnt lgkmcnt(0)
	s_and_b32 s4, s7, 0xffff
	s_mul_i32 s6, s6, s4
	v_add_u32_e32 v1, s6, v0
	global_load_ubyte v10, v1, s[2:3]
	global_load_ubyte v0, v1, s[0:1]
	v_and_b32_e32 v4, 63, v7
	v_mov_b32_e32 v3, 0x80
	v_cmp_ne_u32_e32 vcc, 63, v4
	v_lshl_or_b32 v2, v7, 2, v3
	v_addc_co_u32_e32 v3, vcc, 0, v7, vcc
	v_cmp_gt_u32_e32 vcc, 62, v4
	v_cndmask_b32_e64 v5, 0, 2, vcc
	v_cmp_gt_u32_e32 vcc, 60, v4
	v_cndmask_b32_e64 v6, 0, 4, vcc
	;; [unrolled: 2-line block ×4, first 2 shown]
	v_lshlrev_b64 v[8:9], v7, -1
	v_add_u32_e32 v11, 1, v7
	v_add_u32_e32 v12, 2, v7
	;; [unrolled: 1-line block ×6, first 2 shown]
	s_movk_i32 s14, 0x64
	v_lshlrev_b32_e32 v3, 2, v3
	v_add_lshl_u32 v4, v5, v7, 2
	v_add_lshl_u32 v5, v6, v7, 2
	;; [unrolled: 1-line block ×4, first 2 shown]
	s_waitcnt vmcnt(1)
	v_cmp_ne_u16_e32 vcc, 0, v10
	v_cndmask_b32_e64 v10, 0, 1, vcc
	v_cmp_ne_u32_e32 vcc, 0, v10
	s_lshr_b64 s[0:1], vcc, 1
	v_and_b32_e32 v9, s1, v9
	v_or_b32_e32 v9, 0x80000000, v9
	v_and_b32_e32 v8, s0, v8
	v_ffbl_b32_e32 v9, v9
	v_ffbl_b32_e32 v8, v8
	v_add_u32_e32 v9, 32, v9
	v_min_u32_e32 v8, v8, v9
	v_cmp_le_u32_e32 vcc, v11, v8
	v_cmp_le_u32_e64 s[0:1], v12, v8
	v_cmp_le_u32_e64 s[2:3], v13, v8
	s_or_b64 s[8:9], vcc, s[0:1]
	v_cmp_le_u32_e64 s[4:5], v14, v8
	s_or_b64 s[8:9], s[2:3], s[8:9]
	v_cmp_le_u32_e64 s[6:7], v15, v8
	s_or_b64 s[8:9], s[4:5], s[8:9]
	s_or_b64 s[10:11], s[6:7], s[8:9]
	v_cmp_le_u32_e64 s[8:9], v16, v8
	s_or_b64 s[10:11], s[8:9], s[10:11]
.LBB62_1:                               ; =>This Inner Loop Header: Depth=1
	s_waitcnt vmcnt(0)
	v_and_b32_e32 v8, 0xff, v0
	ds_bpermute_b32 v9, v3, v8
	s_add_i32 s14, s14, -1
	s_cmp_eq_u32 s14, 0
	s_waitcnt lgkmcnt(0)
	v_add_u16_e32 v9, v0, v9
	v_and_b32_e32 v10, 0xff, v9
	v_cndmask_b32_e32 v8, v8, v10, vcc
	ds_bpermute_b32 v10, v4, v8
	v_cndmask_b32_e32 v9, v0, v9, vcc
	s_waitcnt lgkmcnt(0)
	v_add_u16_e32 v10, v9, v10
	v_and_b32_e32 v11, 0xff, v10
	v_cndmask_b32_e64 v8, v8, v11, s[0:1]
	ds_bpermute_b32 v11, v5, v8
	v_cndmask_b32_e64 v9, v9, v10, s[0:1]
	s_waitcnt lgkmcnt(0)
	v_add_u16_e32 v10, v9, v11
	v_and_b32_e32 v11, 0xff, v10
	v_cndmask_b32_e64 v8, v8, v11, s[2:3]
	ds_bpermute_b32 v11, v6, v8
	v_cndmask_b32_e64 v9, v9, v10, s[2:3]
	s_waitcnt lgkmcnt(0)
	v_add_u16_e32 v10, v9, v11
	v_and_b32_e32 v11, 0xff, v10
	v_cndmask_b32_e64 v8, v8, v11, s[4:5]
	ds_bpermute_b32 v11, v7, v8
	v_cndmask_b32_e64 v9, v9, v10, s[4:5]
	s_waitcnt lgkmcnt(0)
	v_add_u16_e32 v10, v9, v11
	v_and_b32_e32 v11, 0xff, v10
	v_cndmask_b32_e64 v8, v8, v11, s[6:7]
	ds_bpermute_b32 v8, v2, v8
	v_cndmask_b32_e64 v9, v9, v10, s[6:7]
	s_waitcnt lgkmcnt(0)
	v_cndmask_b32_e64 v8, 0, v8, s[8:9]
	v_add_u16_e32 v8, v9, v8
	v_cndmask_b32_e64 v0, v0, v8, s[10:11]
	s_cbranch_scc0 .LBB62_1
; %bb.2:
	v_mov_b32_e32 v2, s13
	v_add_co_u32_e32 v1, vcc, s12, v1
	v_addc_co_u32_e32 v2, vcc, 0, v2, vcc
	global_store_byte v[1:2], v0, off
	s_endpgm
	.section	.rodata,"a",@progbits
	.p2align	6, 0x0
	.amdhsa_kernel _Z28segmented_warp_reduce_kernelIahLj64ELj100EENSt9enable_ifIXsr15benchmark_utilsE35device_test_enabled_for_warp_size_vIXT1_EEEvE4typeEPKT_PT0_PS3_
		.amdhsa_group_segment_fixed_size 0
		.amdhsa_private_segment_fixed_size 0
		.amdhsa_kernarg_size 280
		.amdhsa_user_sgpr_count 6
		.amdhsa_user_sgpr_private_segment_buffer 1
		.amdhsa_user_sgpr_dispatch_ptr 0
		.amdhsa_user_sgpr_queue_ptr 0
		.amdhsa_user_sgpr_kernarg_segment_ptr 1
		.amdhsa_user_sgpr_dispatch_id 0
		.amdhsa_user_sgpr_flat_scratch_init 0
		.amdhsa_user_sgpr_private_segment_size 0
		.amdhsa_uses_dynamic_stack 0
		.amdhsa_system_sgpr_private_segment_wavefront_offset 0
		.amdhsa_system_sgpr_workgroup_id_x 1
		.amdhsa_system_sgpr_workgroup_id_y 0
		.amdhsa_system_sgpr_workgroup_id_z 0
		.amdhsa_system_sgpr_workgroup_info 0
		.amdhsa_system_vgpr_workitem_id 0
		.amdhsa_next_free_vgpr 19
		.amdhsa_next_free_sgpr 15
		.amdhsa_reserve_vcc 1
		.amdhsa_reserve_flat_scratch 0
		.amdhsa_float_round_mode_32 0
		.amdhsa_float_round_mode_16_64 0
		.amdhsa_float_denorm_mode_32 3
		.amdhsa_float_denorm_mode_16_64 3
		.amdhsa_dx10_clamp 1
		.amdhsa_ieee_mode 1
		.amdhsa_fp16_overflow 0
		.amdhsa_exception_fp_ieee_invalid_op 0
		.amdhsa_exception_fp_denorm_src 0
		.amdhsa_exception_fp_ieee_div_zero 0
		.amdhsa_exception_fp_ieee_overflow 0
		.amdhsa_exception_fp_ieee_underflow 0
		.amdhsa_exception_fp_ieee_inexact 0
		.amdhsa_exception_int_div_zero 0
	.end_amdhsa_kernel
	.section	.text._Z28segmented_warp_reduce_kernelIahLj64ELj100EENSt9enable_ifIXsr15benchmark_utilsE35device_test_enabled_for_warp_size_vIXT1_EEEvE4typeEPKT_PT0_PS3_,"axG",@progbits,_Z28segmented_warp_reduce_kernelIahLj64ELj100EENSt9enable_ifIXsr15benchmark_utilsE35device_test_enabled_for_warp_size_vIXT1_EEEvE4typeEPKT_PT0_PS3_,comdat
.Lfunc_end62:
	.size	_Z28segmented_warp_reduce_kernelIahLj64ELj100EENSt9enable_ifIXsr15benchmark_utilsE35device_test_enabled_for_warp_size_vIXT1_EEEvE4typeEPKT_PT0_PS3_, .Lfunc_end62-_Z28segmented_warp_reduce_kernelIahLj64ELj100EENSt9enable_ifIXsr15benchmark_utilsE35device_test_enabled_for_warp_size_vIXT1_EEEvE4typeEPKT_PT0_PS3_
                                        ; -- End function
	.set _Z28segmented_warp_reduce_kernelIahLj64ELj100EENSt9enable_ifIXsr15benchmark_utilsE35device_test_enabled_for_warp_size_vIXT1_EEEvE4typeEPKT_PT0_PS3_.num_vgpr, 19
	.set _Z28segmented_warp_reduce_kernelIahLj64ELj100EENSt9enable_ifIXsr15benchmark_utilsE35device_test_enabled_for_warp_size_vIXT1_EEEvE4typeEPKT_PT0_PS3_.num_agpr, 0
	.set _Z28segmented_warp_reduce_kernelIahLj64ELj100EENSt9enable_ifIXsr15benchmark_utilsE35device_test_enabled_for_warp_size_vIXT1_EEEvE4typeEPKT_PT0_PS3_.numbered_sgpr, 15
	.set _Z28segmented_warp_reduce_kernelIahLj64ELj100EENSt9enable_ifIXsr15benchmark_utilsE35device_test_enabled_for_warp_size_vIXT1_EEEvE4typeEPKT_PT0_PS3_.num_named_barrier, 0
	.set _Z28segmented_warp_reduce_kernelIahLj64ELj100EENSt9enable_ifIXsr15benchmark_utilsE35device_test_enabled_for_warp_size_vIXT1_EEEvE4typeEPKT_PT0_PS3_.private_seg_size, 0
	.set _Z28segmented_warp_reduce_kernelIahLj64ELj100EENSt9enable_ifIXsr15benchmark_utilsE35device_test_enabled_for_warp_size_vIXT1_EEEvE4typeEPKT_PT0_PS3_.uses_vcc, 1
	.set _Z28segmented_warp_reduce_kernelIahLj64ELj100EENSt9enable_ifIXsr15benchmark_utilsE35device_test_enabled_for_warp_size_vIXT1_EEEvE4typeEPKT_PT0_PS3_.uses_flat_scratch, 0
	.set _Z28segmented_warp_reduce_kernelIahLj64ELj100EENSt9enable_ifIXsr15benchmark_utilsE35device_test_enabled_for_warp_size_vIXT1_EEEvE4typeEPKT_PT0_PS3_.has_dyn_sized_stack, 0
	.set _Z28segmented_warp_reduce_kernelIahLj64ELj100EENSt9enable_ifIXsr15benchmark_utilsE35device_test_enabled_for_warp_size_vIXT1_EEEvE4typeEPKT_PT0_PS3_.has_recursion, 0
	.set _Z28segmented_warp_reduce_kernelIahLj64ELj100EENSt9enable_ifIXsr15benchmark_utilsE35device_test_enabled_for_warp_size_vIXT1_EEEvE4typeEPKT_PT0_PS3_.has_indirect_call, 0
	.section	.AMDGPU.csdata,"",@progbits
; Kernel info:
; codeLenInByte = 616
; TotalNumSgprs: 19
; NumVgprs: 19
; ScratchSize: 0
; MemoryBound: 0
; FloatMode: 240
; IeeeMode: 1
; LDSByteSize: 0 bytes/workgroup (compile time only)
; SGPRBlocks: 2
; VGPRBlocks: 4
; NumSGPRsForWavesPerEU: 19
; NumVGPRsForWavesPerEU: 19
; Occupancy: 10
; WaveLimiterHint : 0
; COMPUTE_PGM_RSRC2:SCRATCH_EN: 0
; COMPUTE_PGM_RSRC2:USER_SGPR: 6
; COMPUTE_PGM_RSRC2:TRAP_HANDLER: 0
; COMPUTE_PGM_RSRC2:TGID_X_EN: 1
; COMPUTE_PGM_RSRC2:TGID_Y_EN: 0
; COMPUTE_PGM_RSRC2:TGID_Z_EN: 0
; COMPUTE_PGM_RSRC2:TIDIG_COMP_CNT: 0
	.section	.text._Z28segmented_warp_reduce_kernelIhhLj15ELj100EENSt9enable_ifIXsr15benchmark_utilsE35device_test_enabled_for_warp_size_vIXT1_EEEvE4typeEPKT_PT0_PS3_,"axG",@progbits,_Z28segmented_warp_reduce_kernelIhhLj15ELj100EENSt9enable_ifIXsr15benchmark_utilsE35device_test_enabled_for_warp_size_vIXT1_EEEvE4typeEPKT_PT0_PS3_,comdat
	.protected	_Z28segmented_warp_reduce_kernelIhhLj15ELj100EENSt9enable_ifIXsr15benchmark_utilsE35device_test_enabled_for_warp_size_vIXT1_EEEvE4typeEPKT_PT0_PS3_ ; -- Begin function _Z28segmented_warp_reduce_kernelIhhLj15ELj100EENSt9enable_ifIXsr15benchmark_utilsE35device_test_enabled_for_warp_size_vIXT1_EEEvE4typeEPKT_PT0_PS3_
	.globl	_Z28segmented_warp_reduce_kernelIhhLj15ELj100EENSt9enable_ifIXsr15benchmark_utilsE35device_test_enabled_for_warp_size_vIXT1_EEEvE4typeEPKT_PT0_PS3_
	.p2align	8
	.type	_Z28segmented_warp_reduce_kernelIhhLj15ELj100EENSt9enable_ifIXsr15benchmark_utilsE35device_test_enabled_for_warp_size_vIXT1_EEEvE4typeEPKT_PT0_PS3_,@function
_Z28segmented_warp_reduce_kernelIhhLj15ELj100EENSt9enable_ifIXsr15benchmark_utilsE35device_test_enabled_for_warp_size_vIXT1_EEEvE4typeEPKT_PT0_PS3_: ; @_Z28segmented_warp_reduce_kernelIhhLj15ELj100EENSt9enable_ifIXsr15benchmark_utilsE35device_test_enabled_for_warp_size_vIXT1_EEEvE4typeEPKT_PT0_PS3_
; %bb.0:
	s_load_dword s2, s[4:5], 0x24
	s_load_dwordx4 s[8:11], s[4:5], 0x0
	s_load_dwordx2 s[0:1], s[4:5], 0x10
	s_movk_i32 s4, 0x64
	s_waitcnt lgkmcnt(0)
	s_and_b32 s2, s2, 0xffff
	s_mul_i32 s6, s6, s2
	v_add_u32_e32 v3, s6, v0
	global_load_ubyte v9, v3, s[10:11]
	global_load_ubyte v2, v3, s[8:9]
	v_mbcnt_lo_u32_b32 v0, -1, 0
	s_mov_b32 s2, 0x11111112
	v_mbcnt_hi_u32_b32 v5, -1, v0
	v_mul_hi_u32 v4, v5, s2
	v_lshlrev_b64 v[0:1], v5, -1
	v_mul_u32_u24_e32 v4, 15, v4
	v_sub_u32_e32 v5, v5, v4
	v_add_u32_e32 v6, 2, v5
	v_add_u32_e32 v7, 4, v5
	;; [unrolled: 1-line block ×3, first 2 shown]
	s_waitcnt vmcnt(1)
	v_cmp_ne_u16_e32 vcc, 0, v9
	v_cndmask_b32_e64 v9, 0, 1, vcc
	s_branch .LBB63_2
.LBB63_1:                               ;   in Loop: Header=BB63_2 Depth=1
	s_or_b64 exec, exec, s[2:3]
	s_add_i32 s4, s4, -1
	s_cmp_eq_u32 s4, 0
	; wave barrier
	s_cbranch_scc1 .LBB63_10
.LBB63_2:                               ; =>This Inner Loop Header: Depth=1
	v_cmp_ne_u32_e32 vcc, 0, v9
	s_lshr_b64 s[2:3], vcc, 1
	v_and_b32_e32 v11, s3, v1
	v_and_b32_e32 v10, s2, v0
	v_lshrrev_b64 v[10:11], v4, v[10:11]
	s_waitcnt vmcnt(0)
	ds_write_b8 v5, v2
	v_or_b32_e32 v10, 0x4000, v10
	v_ffbl_b32_e32 v11, v11
	v_add_u32_e32 v11, 32, v11
	v_ffbl_b32_e32 v10, v10
	v_min_u32_e32 v10, v10, v11
	v_cmp_lt_u32_e32 vcc, v5, v10
	; wave barrier
	s_and_saveexec_b64 s[2:3], vcc
	s_cbranch_execz .LBB63_4
; %bb.3:                                ;   in Loop: Header=BB63_2 Depth=1
	ds_read_u8 v11, v5 offset:1
	s_waitcnt lgkmcnt(0)
	v_add_u16_e32 v2, v11, v2
.LBB63_4:                               ;   in Loop: Header=BB63_2 Depth=1
	s_or_b64 exec, exec, s[2:3]
	v_cmp_le_u32_e32 vcc, v6, v10
	; wave barrier
	ds_write_b8 v5, v2
	; wave barrier
	s_and_saveexec_b64 s[2:3], vcc
	s_cbranch_execz .LBB63_6
; %bb.5:                                ;   in Loop: Header=BB63_2 Depth=1
	ds_read_u8 v11, v5 offset:2
	s_waitcnt lgkmcnt(0)
	v_add_u16_e32 v2, v11, v2
.LBB63_6:                               ;   in Loop: Header=BB63_2 Depth=1
	s_or_b64 exec, exec, s[2:3]
	v_cmp_le_u32_e32 vcc, v7, v10
	; wave barrier
	ds_write_b8 v5, v2
	;; [unrolled: 12-line block ×3, first 2 shown]
	; wave barrier
	s_and_saveexec_b64 s[2:3], vcc
	s_cbranch_execz .LBB63_1
; %bb.9:                                ;   in Loop: Header=BB63_2 Depth=1
	ds_read_u8 v10, v5 offset:8
	s_waitcnt lgkmcnt(0)
	v_add_u16_e32 v2, v10, v2
	s_branch .LBB63_1
.LBB63_10:
	v_mov_b32_e32 v1, s1
	v_add_co_u32_e32 v0, vcc, s0, v3
	v_addc_co_u32_e32 v1, vcc, 0, v1, vcc
	global_store_byte v[0:1], v2, off
	s_endpgm
	.section	.rodata,"a",@progbits
	.p2align	6, 0x0
	.amdhsa_kernel _Z28segmented_warp_reduce_kernelIhhLj15ELj100EENSt9enable_ifIXsr15benchmark_utilsE35device_test_enabled_for_warp_size_vIXT1_EEEvE4typeEPKT_PT0_PS3_
		.amdhsa_group_segment_fixed_size 15
		.amdhsa_private_segment_fixed_size 0
		.amdhsa_kernarg_size 280
		.amdhsa_user_sgpr_count 6
		.amdhsa_user_sgpr_private_segment_buffer 1
		.amdhsa_user_sgpr_dispatch_ptr 0
		.amdhsa_user_sgpr_queue_ptr 0
		.amdhsa_user_sgpr_kernarg_segment_ptr 1
		.amdhsa_user_sgpr_dispatch_id 0
		.amdhsa_user_sgpr_flat_scratch_init 0
		.amdhsa_user_sgpr_private_segment_size 0
		.amdhsa_uses_dynamic_stack 0
		.amdhsa_system_sgpr_private_segment_wavefront_offset 0
		.amdhsa_system_sgpr_workgroup_id_x 1
		.amdhsa_system_sgpr_workgroup_id_y 0
		.amdhsa_system_sgpr_workgroup_id_z 0
		.amdhsa_system_sgpr_workgroup_info 0
		.amdhsa_system_vgpr_workitem_id 0
		.amdhsa_next_free_vgpr 12
		.amdhsa_next_free_sgpr 12
		.amdhsa_reserve_vcc 1
		.amdhsa_reserve_flat_scratch 0
		.amdhsa_float_round_mode_32 0
		.amdhsa_float_round_mode_16_64 0
		.amdhsa_float_denorm_mode_32 3
		.amdhsa_float_denorm_mode_16_64 3
		.amdhsa_dx10_clamp 1
		.amdhsa_ieee_mode 1
		.amdhsa_fp16_overflow 0
		.amdhsa_exception_fp_ieee_invalid_op 0
		.amdhsa_exception_fp_denorm_src 0
		.amdhsa_exception_fp_ieee_div_zero 0
		.amdhsa_exception_fp_ieee_overflow 0
		.amdhsa_exception_fp_ieee_underflow 0
		.amdhsa_exception_fp_ieee_inexact 0
		.amdhsa_exception_int_div_zero 0
	.end_amdhsa_kernel
	.section	.text._Z28segmented_warp_reduce_kernelIhhLj15ELj100EENSt9enable_ifIXsr15benchmark_utilsE35device_test_enabled_for_warp_size_vIXT1_EEEvE4typeEPKT_PT0_PS3_,"axG",@progbits,_Z28segmented_warp_reduce_kernelIhhLj15ELj100EENSt9enable_ifIXsr15benchmark_utilsE35device_test_enabled_for_warp_size_vIXT1_EEEvE4typeEPKT_PT0_PS3_,comdat
.Lfunc_end63:
	.size	_Z28segmented_warp_reduce_kernelIhhLj15ELj100EENSt9enable_ifIXsr15benchmark_utilsE35device_test_enabled_for_warp_size_vIXT1_EEEvE4typeEPKT_PT0_PS3_, .Lfunc_end63-_Z28segmented_warp_reduce_kernelIhhLj15ELj100EENSt9enable_ifIXsr15benchmark_utilsE35device_test_enabled_for_warp_size_vIXT1_EEEvE4typeEPKT_PT0_PS3_
                                        ; -- End function
	.set _Z28segmented_warp_reduce_kernelIhhLj15ELj100EENSt9enable_ifIXsr15benchmark_utilsE35device_test_enabled_for_warp_size_vIXT1_EEEvE4typeEPKT_PT0_PS3_.num_vgpr, 12
	.set _Z28segmented_warp_reduce_kernelIhhLj15ELj100EENSt9enable_ifIXsr15benchmark_utilsE35device_test_enabled_for_warp_size_vIXT1_EEEvE4typeEPKT_PT0_PS3_.num_agpr, 0
	.set _Z28segmented_warp_reduce_kernelIhhLj15ELj100EENSt9enable_ifIXsr15benchmark_utilsE35device_test_enabled_for_warp_size_vIXT1_EEEvE4typeEPKT_PT0_PS3_.numbered_sgpr, 12
	.set _Z28segmented_warp_reduce_kernelIhhLj15ELj100EENSt9enable_ifIXsr15benchmark_utilsE35device_test_enabled_for_warp_size_vIXT1_EEEvE4typeEPKT_PT0_PS3_.num_named_barrier, 0
	.set _Z28segmented_warp_reduce_kernelIhhLj15ELj100EENSt9enable_ifIXsr15benchmark_utilsE35device_test_enabled_for_warp_size_vIXT1_EEEvE4typeEPKT_PT0_PS3_.private_seg_size, 0
	.set _Z28segmented_warp_reduce_kernelIhhLj15ELj100EENSt9enable_ifIXsr15benchmark_utilsE35device_test_enabled_for_warp_size_vIXT1_EEEvE4typeEPKT_PT0_PS3_.uses_vcc, 1
	.set _Z28segmented_warp_reduce_kernelIhhLj15ELj100EENSt9enable_ifIXsr15benchmark_utilsE35device_test_enabled_for_warp_size_vIXT1_EEEvE4typeEPKT_PT0_PS3_.uses_flat_scratch, 0
	.set _Z28segmented_warp_reduce_kernelIhhLj15ELj100EENSt9enable_ifIXsr15benchmark_utilsE35device_test_enabled_for_warp_size_vIXT1_EEEvE4typeEPKT_PT0_PS3_.has_dyn_sized_stack, 0
	.set _Z28segmented_warp_reduce_kernelIhhLj15ELj100EENSt9enable_ifIXsr15benchmark_utilsE35device_test_enabled_for_warp_size_vIXT1_EEEvE4typeEPKT_PT0_PS3_.has_recursion, 0
	.set _Z28segmented_warp_reduce_kernelIhhLj15ELj100EENSt9enable_ifIXsr15benchmark_utilsE35device_test_enabled_for_warp_size_vIXT1_EEEvE4typeEPKT_PT0_PS3_.has_indirect_call, 0
	.section	.AMDGPU.csdata,"",@progbits
; Kernel info:
; codeLenInByte = 396
; TotalNumSgprs: 16
; NumVgprs: 12
; ScratchSize: 0
; MemoryBound: 0
; FloatMode: 240
; IeeeMode: 1
; LDSByteSize: 15 bytes/workgroup (compile time only)
; SGPRBlocks: 1
; VGPRBlocks: 2
; NumSGPRsForWavesPerEU: 16
; NumVGPRsForWavesPerEU: 12
; Occupancy: 10
; WaveLimiterHint : 0
; COMPUTE_PGM_RSRC2:SCRATCH_EN: 0
; COMPUTE_PGM_RSRC2:USER_SGPR: 6
; COMPUTE_PGM_RSRC2:TRAP_HANDLER: 0
; COMPUTE_PGM_RSRC2:TGID_X_EN: 1
; COMPUTE_PGM_RSRC2:TGID_Y_EN: 0
; COMPUTE_PGM_RSRC2:TGID_Z_EN: 0
; COMPUTE_PGM_RSRC2:TIDIG_COMP_CNT: 0
	.section	.text._Z28segmented_warp_reduce_kernelIhhLj16ELj100EENSt9enable_ifIXsr15benchmark_utilsE35device_test_enabled_for_warp_size_vIXT1_EEEvE4typeEPKT_PT0_PS3_,"axG",@progbits,_Z28segmented_warp_reduce_kernelIhhLj16ELj100EENSt9enable_ifIXsr15benchmark_utilsE35device_test_enabled_for_warp_size_vIXT1_EEEvE4typeEPKT_PT0_PS3_,comdat
	.protected	_Z28segmented_warp_reduce_kernelIhhLj16ELj100EENSt9enable_ifIXsr15benchmark_utilsE35device_test_enabled_for_warp_size_vIXT1_EEEvE4typeEPKT_PT0_PS3_ ; -- Begin function _Z28segmented_warp_reduce_kernelIhhLj16ELj100EENSt9enable_ifIXsr15benchmark_utilsE35device_test_enabled_for_warp_size_vIXT1_EEEvE4typeEPKT_PT0_PS3_
	.globl	_Z28segmented_warp_reduce_kernelIhhLj16ELj100EENSt9enable_ifIXsr15benchmark_utilsE35device_test_enabled_for_warp_size_vIXT1_EEEvE4typeEPKT_PT0_PS3_
	.p2align	8
	.type	_Z28segmented_warp_reduce_kernelIhhLj16ELj100EENSt9enable_ifIXsr15benchmark_utilsE35device_test_enabled_for_warp_size_vIXT1_EEEvE4typeEPKT_PT0_PS3_,@function
_Z28segmented_warp_reduce_kernelIhhLj16ELj100EENSt9enable_ifIXsr15benchmark_utilsE35device_test_enabled_for_warp_size_vIXT1_EEEvE4typeEPKT_PT0_PS3_: ; @_Z28segmented_warp_reduce_kernelIhhLj16ELj100EENSt9enable_ifIXsr15benchmark_utilsE35device_test_enabled_for_warp_size_vIXT1_EEEvE4typeEPKT_PT0_PS3_
; %bb.0:
	s_load_dword s7, s[4:5], 0x24
	s_load_dwordx4 s[0:3], s[4:5], 0x0
	s_load_dwordx2 s[8:9], s[4:5], 0x10
	v_mbcnt_lo_u32_b32 v2, -1, 0
	v_mbcnt_hi_u32_b32 v8, -1, v2
	s_waitcnt lgkmcnt(0)
	s_and_b32 s4, s7, 0xffff
	s_mul_i32 s6, s6, s4
	v_add_u32_e32 v1, s6, v0
	global_load_ubyte v7, v1, s[2:3]
	global_load_ubyte v0, v1, s[0:1]
	v_and_b32_e32 v10, 15, v8
	v_cmp_ne_u32_e32 vcc, 15, v10
	v_addc_co_u32_e32 v3, vcc, 0, v8, vcc
	v_cmp_gt_u32_e32 vcc, 14, v10
	v_cndmask_b32_e64 v4, 0, 2, vcc
	v_cmp_gt_u32_e32 vcc, 12, v10
	v_cndmask_b32_e64 v13, 0, 4, vcc
	v_lshlrev_b64 v[5:6], v8, -1
	v_and_b32_e32 v9, 0x70, v8
	v_add_u32_e32 v11, 2, v10
	v_add_u32_e32 v12, 4, v10
	v_add_u32_e32 v14, 8, v10
	s_movk_i32 s10, 0x64
	v_lshl_or_b32 v2, v8, 2, 32
	v_lshlrev_b32_e32 v3, 2, v3
	v_add_lshl_u32 v4, v4, v8, 2
	s_waitcnt vmcnt(1)
	v_cmp_ne_u16_e32 vcc, 0, v7
	v_cndmask_b32_e64 v7, 0, 1, vcc
	v_cmp_ne_u32_e32 vcc, 0, v7
	s_lshr_b64 s[0:1], vcc, 1
	v_and_b32_e32 v6, s1, v6
	v_and_b32_e32 v5, s0, v5
	v_lshrrev_b64 v[6:7], v9, v[5:6]
	v_add_lshl_u32 v5, v13, v8, 2
	v_or_b32_e32 v6, 0x8000, v6
	v_ffbl_b32_e32 v7, v7
	v_add_u32_e32 v7, 32, v7
	v_ffbl_b32_e32 v6, v6
	v_min_u32_e32 v6, v6, v7
	v_cmp_lt_u32_e64 s[0:1], v10, v6
	v_cmp_gt_u32_e64 s[2:3], v11, v6
	v_cmp_gt_u32_e64 s[4:5], v12, v6
	v_cmp_le_u32_e64 s[6:7], v14, v6
.LBB64_1:                               ; =>This Inner Loop Header: Depth=1
	s_waitcnt vmcnt(0)
	v_and_b32_e32 v6, 0xff, v0
	ds_bpermute_b32 v7, v3, v6
	s_mov_b64 vcc, s[0:1]
	s_add_i32 s10, s10, -1
	s_cmp_eq_u32 s10, 0
	s_waitcnt lgkmcnt(0)
	v_add_u16_e32 v7, v0, v7
	v_cndmask_b32_sdwa v6, v6, v7, vcc dst_sel:DWORD dst_unused:UNUSED_PAD src0_sel:DWORD src1_sel:BYTE_0
	ds_bpermute_b32 v8, v4, v6
	v_cndmask_b32_e64 v7, v0, v7, s[0:1]
	s_mov_b64 vcc, s[2:3]
	s_waitcnt lgkmcnt(0)
	v_add_u16_e32 v8, v7, v8
	v_cndmask_b32_sdwa v6, v8, v6, vcc dst_sel:DWORD dst_unused:UNUSED_PAD src0_sel:BYTE_0 src1_sel:DWORD
	ds_bpermute_b32 v9, v5, v6
	v_cndmask_b32_e64 v7, v8, v7, s[2:3]
	s_mov_b64 vcc, s[4:5]
	s_waitcnt lgkmcnt(0)
	v_add_u16_e32 v8, v7, v9
	v_cndmask_b32_sdwa v6, v8, v6, vcc dst_sel:DWORD dst_unused:UNUSED_PAD src0_sel:BYTE_0 src1_sel:DWORD
	ds_bpermute_b32 v6, v2, v6
	v_cndmask_b32_e64 v7, v8, v7, s[4:5]
	s_waitcnt lgkmcnt(0)
	v_cndmask_b32_e64 v6, 0, v6, s[6:7]
	v_add_u16_e32 v6, v7, v6
	v_cndmask_b32_e64 v0, v0, v6, s[0:1]
	s_cbranch_scc0 .LBB64_1
; %bb.2:
	v_mov_b32_e32 v2, s9
	v_add_co_u32_e32 v1, vcc, s8, v1
	v_addc_co_u32_e32 v2, vcc, 0, v2, vcc
	global_store_byte v[1:2], v0, off
	s_endpgm
	.section	.rodata,"a",@progbits
	.p2align	6, 0x0
	.amdhsa_kernel _Z28segmented_warp_reduce_kernelIhhLj16ELj100EENSt9enable_ifIXsr15benchmark_utilsE35device_test_enabled_for_warp_size_vIXT1_EEEvE4typeEPKT_PT0_PS3_
		.amdhsa_group_segment_fixed_size 0
		.amdhsa_private_segment_fixed_size 0
		.amdhsa_kernarg_size 280
		.amdhsa_user_sgpr_count 6
		.amdhsa_user_sgpr_private_segment_buffer 1
		.amdhsa_user_sgpr_dispatch_ptr 0
		.amdhsa_user_sgpr_queue_ptr 0
		.amdhsa_user_sgpr_kernarg_segment_ptr 1
		.amdhsa_user_sgpr_dispatch_id 0
		.amdhsa_user_sgpr_flat_scratch_init 0
		.amdhsa_user_sgpr_private_segment_size 0
		.amdhsa_uses_dynamic_stack 0
		.amdhsa_system_sgpr_private_segment_wavefront_offset 0
		.amdhsa_system_sgpr_workgroup_id_x 1
		.amdhsa_system_sgpr_workgroup_id_y 0
		.amdhsa_system_sgpr_workgroup_id_z 0
		.amdhsa_system_sgpr_workgroup_info 0
		.amdhsa_system_vgpr_workitem_id 0
		.amdhsa_next_free_vgpr 15
		.amdhsa_next_free_sgpr 11
		.amdhsa_reserve_vcc 1
		.amdhsa_reserve_flat_scratch 0
		.amdhsa_float_round_mode_32 0
		.amdhsa_float_round_mode_16_64 0
		.amdhsa_float_denorm_mode_32 3
		.amdhsa_float_denorm_mode_16_64 3
		.amdhsa_dx10_clamp 1
		.amdhsa_ieee_mode 1
		.amdhsa_fp16_overflow 0
		.amdhsa_exception_fp_ieee_invalid_op 0
		.amdhsa_exception_fp_denorm_src 0
		.amdhsa_exception_fp_ieee_div_zero 0
		.amdhsa_exception_fp_ieee_overflow 0
		.amdhsa_exception_fp_ieee_underflow 0
		.amdhsa_exception_fp_ieee_inexact 0
		.amdhsa_exception_int_div_zero 0
	.end_amdhsa_kernel
	.section	.text._Z28segmented_warp_reduce_kernelIhhLj16ELj100EENSt9enable_ifIXsr15benchmark_utilsE35device_test_enabled_for_warp_size_vIXT1_EEEvE4typeEPKT_PT0_PS3_,"axG",@progbits,_Z28segmented_warp_reduce_kernelIhhLj16ELj100EENSt9enable_ifIXsr15benchmark_utilsE35device_test_enabled_for_warp_size_vIXT1_EEEvE4typeEPKT_PT0_PS3_,comdat
.Lfunc_end64:
	.size	_Z28segmented_warp_reduce_kernelIhhLj16ELj100EENSt9enable_ifIXsr15benchmark_utilsE35device_test_enabled_for_warp_size_vIXT1_EEEvE4typeEPKT_PT0_PS3_, .Lfunc_end64-_Z28segmented_warp_reduce_kernelIhhLj16ELj100EENSt9enable_ifIXsr15benchmark_utilsE35device_test_enabled_for_warp_size_vIXT1_EEEvE4typeEPKT_PT0_PS3_
                                        ; -- End function
	.set _Z28segmented_warp_reduce_kernelIhhLj16ELj100EENSt9enable_ifIXsr15benchmark_utilsE35device_test_enabled_for_warp_size_vIXT1_EEEvE4typeEPKT_PT0_PS3_.num_vgpr, 15
	.set _Z28segmented_warp_reduce_kernelIhhLj16ELj100EENSt9enable_ifIXsr15benchmark_utilsE35device_test_enabled_for_warp_size_vIXT1_EEEvE4typeEPKT_PT0_PS3_.num_agpr, 0
	.set _Z28segmented_warp_reduce_kernelIhhLj16ELj100EENSt9enable_ifIXsr15benchmark_utilsE35device_test_enabled_for_warp_size_vIXT1_EEEvE4typeEPKT_PT0_PS3_.numbered_sgpr, 11
	.set _Z28segmented_warp_reduce_kernelIhhLj16ELj100EENSt9enable_ifIXsr15benchmark_utilsE35device_test_enabled_for_warp_size_vIXT1_EEEvE4typeEPKT_PT0_PS3_.num_named_barrier, 0
	.set _Z28segmented_warp_reduce_kernelIhhLj16ELj100EENSt9enable_ifIXsr15benchmark_utilsE35device_test_enabled_for_warp_size_vIXT1_EEEvE4typeEPKT_PT0_PS3_.private_seg_size, 0
	.set _Z28segmented_warp_reduce_kernelIhhLj16ELj100EENSt9enable_ifIXsr15benchmark_utilsE35device_test_enabled_for_warp_size_vIXT1_EEEvE4typeEPKT_PT0_PS3_.uses_vcc, 1
	.set _Z28segmented_warp_reduce_kernelIhhLj16ELj100EENSt9enable_ifIXsr15benchmark_utilsE35device_test_enabled_for_warp_size_vIXT1_EEEvE4typeEPKT_PT0_PS3_.uses_flat_scratch, 0
	.set _Z28segmented_warp_reduce_kernelIhhLj16ELj100EENSt9enable_ifIXsr15benchmark_utilsE35device_test_enabled_for_warp_size_vIXT1_EEEvE4typeEPKT_PT0_PS3_.has_dyn_sized_stack, 0
	.set _Z28segmented_warp_reduce_kernelIhhLj16ELj100EENSt9enable_ifIXsr15benchmark_utilsE35device_test_enabled_for_warp_size_vIXT1_EEEvE4typeEPKT_PT0_PS3_.has_recursion, 0
	.set _Z28segmented_warp_reduce_kernelIhhLj16ELj100EENSt9enable_ifIXsr15benchmark_utilsE35device_test_enabled_for_warp_size_vIXT1_EEEvE4typeEPKT_PT0_PS3_.has_indirect_call, 0
	.section	.AMDGPU.csdata,"",@progbits
; Kernel info:
; codeLenInByte = 456
; TotalNumSgprs: 15
; NumVgprs: 15
; ScratchSize: 0
; MemoryBound: 0
; FloatMode: 240
; IeeeMode: 1
; LDSByteSize: 0 bytes/workgroup (compile time only)
; SGPRBlocks: 1
; VGPRBlocks: 3
; NumSGPRsForWavesPerEU: 15
; NumVGPRsForWavesPerEU: 15
; Occupancy: 10
; WaveLimiterHint : 0
; COMPUTE_PGM_RSRC2:SCRATCH_EN: 0
; COMPUTE_PGM_RSRC2:USER_SGPR: 6
; COMPUTE_PGM_RSRC2:TRAP_HANDLER: 0
; COMPUTE_PGM_RSRC2:TGID_X_EN: 1
; COMPUTE_PGM_RSRC2:TGID_Y_EN: 0
; COMPUTE_PGM_RSRC2:TGID_Z_EN: 0
; COMPUTE_PGM_RSRC2:TIDIG_COMP_CNT: 0
	.section	.text._Z28segmented_warp_reduce_kernelIhhLj31ELj100EENSt9enable_ifIXsr15benchmark_utilsE35device_test_enabled_for_warp_size_vIXT1_EEEvE4typeEPKT_PT0_PS3_,"axG",@progbits,_Z28segmented_warp_reduce_kernelIhhLj31ELj100EENSt9enable_ifIXsr15benchmark_utilsE35device_test_enabled_for_warp_size_vIXT1_EEEvE4typeEPKT_PT0_PS3_,comdat
	.protected	_Z28segmented_warp_reduce_kernelIhhLj31ELj100EENSt9enable_ifIXsr15benchmark_utilsE35device_test_enabled_for_warp_size_vIXT1_EEEvE4typeEPKT_PT0_PS3_ ; -- Begin function _Z28segmented_warp_reduce_kernelIhhLj31ELj100EENSt9enable_ifIXsr15benchmark_utilsE35device_test_enabled_for_warp_size_vIXT1_EEEvE4typeEPKT_PT0_PS3_
	.globl	_Z28segmented_warp_reduce_kernelIhhLj31ELj100EENSt9enable_ifIXsr15benchmark_utilsE35device_test_enabled_for_warp_size_vIXT1_EEEvE4typeEPKT_PT0_PS3_
	.p2align	8
	.type	_Z28segmented_warp_reduce_kernelIhhLj31ELj100EENSt9enable_ifIXsr15benchmark_utilsE35device_test_enabled_for_warp_size_vIXT1_EEEvE4typeEPKT_PT0_PS3_,@function
_Z28segmented_warp_reduce_kernelIhhLj31ELj100EENSt9enable_ifIXsr15benchmark_utilsE35device_test_enabled_for_warp_size_vIXT1_EEEvE4typeEPKT_PT0_PS3_: ; @_Z28segmented_warp_reduce_kernelIhhLj31ELj100EENSt9enable_ifIXsr15benchmark_utilsE35device_test_enabled_for_warp_size_vIXT1_EEEvE4typeEPKT_PT0_PS3_
; %bb.0:
	s_load_dword s2, s[4:5], 0x24
	s_load_dwordx4 s[8:11], s[4:5], 0x0
	s_load_dwordx2 s[0:1], s[4:5], 0x10
	s_movk_i32 s4, 0x64
	s_waitcnt lgkmcnt(0)
	s_and_b32 s2, s2, 0xffff
	s_mul_i32 s6, s6, s2
	v_add_u32_e32 v3, s6, v0
	global_load_ubyte v10, v3, s[10:11]
	global_load_ubyte v2, v3, s[8:9]
	v_mbcnt_lo_u32_b32 v0, -1, 0
	s_mov_b32 s2, 0x8421085
	v_mbcnt_hi_u32_b32 v5, -1, v0
	v_mul_hi_u32 v4, v5, s2
	v_lshlrev_b64 v[0:1], v5, -1
	v_mul_u32_u24_e32 v4, 31, v4
	v_sub_u32_e32 v5, v5, v4
	v_add_u32_e32 v6, 2, v5
	v_add_u32_e32 v7, 4, v5
	;; [unrolled: 1-line block ×4, first 2 shown]
	s_waitcnt vmcnt(1)
	v_cmp_ne_u16_e32 vcc, 0, v10
	v_cndmask_b32_e64 v10, 0, 1, vcc
	s_branch .LBB65_2
.LBB65_1:                               ;   in Loop: Header=BB65_2 Depth=1
	s_or_b64 exec, exec, s[2:3]
	s_add_i32 s4, s4, -1
	s_cmp_eq_u32 s4, 0
	; wave barrier
	s_cbranch_scc1 .LBB65_12
.LBB65_2:                               ; =>This Inner Loop Header: Depth=1
	v_cmp_ne_u32_e32 vcc, 0, v10
	s_lshr_b64 s[2:3], vcc, 1
	v_and_b32_e32 v12, s3, v1
	v_and_b32_e32 v11, s2, v0
	v_lshrrev_b64 v[11:12], v4, v[11:12]
	s_waitcnt vmcnt(0)
	ds_write_b8 v5, v2
	v_or_b32_e32 v11, 2.0, v11
	v_ffbl_b32_e32 v12, v12
	v_add_u32_e32 v12, 32, v12
	v_ffbl_b32_e32 v11, v11
	v_min_u32_e32 v11, v11, v12
	v_cmp_lt_u32_e32 vcc, v5, v11
	; wave barrier
	s_and_saveexec_b64 s[2:3], vcc
	s_cbranch_execz .LBB65_4
; %bb.3:                                ;   in Loop: Header=BB65_2 Depth=1
	ds_read_u8 v12, v5 offset:1
	s_waitcnt lgkmcnt(0)
	v_add_u16_e32 v2, v12, v2
.LBB65_4:                               ;   in Loop: Header=BB65_2 Depth=1
	s_or_b64 exec, exec, s[2:3]
	v_cmp_le_u32_e32 vcc, v6, v11
	; wave barrier
	ds_write_b8 v5, v2
	; wave barrier
	s_and_saveexec_b64 s[2:3], vcc
	s_cbranch_execz .LBB65_6
; %bb.5:                                ;   in Loop: Header=BB65_2 Depth=1
	ds_read_u8 v12, v5 offset:2
	s_waitcnt lgkmcnt(0)
	v_add_u16_e32 v2, v12, v2
.LBB65_6:                               ;   in Loop: Header=BB65_2 Depth=1
	s_or_b64 exec, exec, s[2:3]
	v_cmp_le_u32_e32 vcc, v7, v11
	; wave barrier
	ds_write_b8 v5, v2
	;; [unrolled: 12-line block ×3, first 2 shown]
	; wave barrier
	s_and_saveexec_b64 s[2:3], vcc
	s_cbranch_execz .LBB65_10
; %bb.9:                                ;   in Loop: Header=BB65_2 Depth=1
	ds_read_u8 v12, v5 offset:8
	s_waitcnt lgkmcnt(0)
	v_add_u16_e32 v2, v12, v2
.LBB65_10:                              ;   in Loop: Header=BB65_2 Depth=1
	s_or_b64 exec, exec, s[2:3]
	v_cmp_le_u32_e32 vcc, v9, v11
	; wave barrier
	ds_write_b8 v5, v2
	; wave barrier
	s_and_saveexec_b64 s[2:3], vcc
	s_cbranch_execz .LBB65_1
; %bb.11:                               ;   in Loop: Header=BB65_2 Depth=1
	ds_read_u8 v11, v5 offset:16
	s_waitcnt lgkmcnt(0)
	v_add_u16_e32 v2, v11, v2
	s_branch .LBB65_1
.LBB65_12:
	v_mov_b32_e32 v1, s1
	v_add_co_u32_e32 v0, vcc, s0, v3
	v_addc_co_u32_e32 v1, vcc, 0, v1, vcc
	global_store_byte v[0:1], v2, off
	s_endpgm
	.section	.rodata,"a",@progbits
	.p2align	6, 0x0
	.amdhsa_kernel _Z28segmented_warp_reduce_kernelIhhLj31ELj100EENSt9enable_ifIXsr15benchmark_utilsE35device_test_enabled_for_warp_size_vIXT1_EEEvE4typeEPKT_PT0_PS3_
		.amdhsa_group_segment_fixed_size 31
		.amdhsa_private_segment_fixed_size 0
		.amdhsa_kernarg_size 280
		.amdhsa_user_sgpr_count 6
		.amdhsa_user_sgpr_private_segment_buffer 1
		.amdhsa_user_sgpr_dispatch_ptr 0
		.amdhsa_user_sgpr_queue_ptr 0
		.amdhsa_user_sgpr_kernarg_segment_ptr 1
		.amdhsa_user_sgpr_dispatch_id 0
		.amdhsa_user_sgpr_flat_scratch_init 0
		.amdhsa_user_sgpr_private_segment_size 0
		.amdhsa_uses_dynamic_stack 0
		.amdhsa_system_sgpr_private_segment_wavefront_offset 0
		.amdhsa_system_sgpr_workgroup_id_x 1
		.amdhsa_system_sgpr_workgroup_id_y 0
		.amdhsa_system_sgpr_workgroup_id_z 0
		.amdhsa_system_sgpr_workgroup_info 0
		.amdhsa_system_vgpr_workitem_id 0
		.amdhsa_next_free_vgpr 13
		.amdhsa_next_free_sgpr 12
		.amdhsa_reserve_vcc 1
		.amdhsa_reserve_flat_scratch 0
		.amdhsa_float_round_mode_32 0
		.amdhsa_float_round_mode_16_64 0
		.amdhsa_float_denorm_mode_32 3
		.amdhsa_float_denorm_mode_16_64 3
		.amdhsa_dx10_clamp 1
		.amdhsa_ieee_mode 1
		.amdhsa_fp16_overflow 0
		.amdhsa_exception_fp_ieee_invalid_op 0
		.amdhsa_exception_fp_denorm_src 0
		.amdhsa_exception_fp_ieee_div_zero 0
		.amdhsa_exception_fp_ieee_overflow 0
		.amdhsa_exception_fp_ieee_underflow 0
		.amdhsa_exception_fp_ieee_inexact 0
		.amdhsa_exception_int_div_zero 0
	.end_amdhsa_kernel
	.section	.text._Z28segmented_warp_reduce_kernelIhhLj31ELj100EENSt9enable_ifIXsr15benchmark_utilsE35device_test_enabled_for_warp_size_vIXT1_EEEvE4typeEPKT_PT0_PS3_,"axG",@progbits,_Z28segmented_warp_reduce_kernelIhhLj31ELj100EENSt9enable_ifIXsr15benchmark_utilsE35device_test_enabled_for_warp_size_vIXT1_EEEvE4typeEPKT_PT0_PS3_,comdat
.Lfunc_end65:
	.size	_Z28segmented_warp_reduce_kernelIhhLj31ELj100EENSt9enable_ifIXsr15benchmark_utilsE35device_test_enabled_for_warp_size_vIXT1_EEEvE4typeEPKT_PT0_PS3_, .Lfunc_end65-_Z28segmented_warp_reduce_kernelIhhLj31ELj100EENSt9enable_ifIXsr15benchmark_utilsE35device_test_enabled_for_warp_size_vIXT1_EEEvE4typeEPKT_PT0_PS3_
                                        ; -- End function
	.set _Z28segmented_warp_reduce_kernelIhhLj31ELj100EENSt9enable_ifIXsr15benchmark_utilsE35device_test_enabled_for_warp_size_vIXT1_EEEvE4typeEPKT_PT0_PS3_.num_vgpr, 13
	.set _Z28segmented_warp_reduce_kernelIhhLj31ELj100EENSt9enable_ifIXsr15benchmark_utilsE35device_test_enabled_for_warp_size_vIXT1_EEEvE4typeEPKT_PT0_PS3_.num_agpr, 0
	.set _Z28segmented_warp_reduce_kernelIhhLj31ELj100EENSt9enable_ifIXsr15benchmark_utilsE35device_test_enabled_for_warp_size_vIXT1_EEEvE4typeEPKT_PT0_PS3_.numbered_sgpr, 12
	.set _Z28segmented_warp_reduce_kernelIhhLj31ELj100EENSt9enable_ifIXsr15benchmark_utilsE35device_test_enabled_for_warp_size_vIXT1_EEEvE4typeEPKT_PT0_PS3_.num_named_barrier, 0
	.set _Z28segmented_warp_reduce_kernelIhhLj31ELj100EENSt9enable_ifIXsr15benchmark_utilsE35device_test_enabled_for_warp_size_vIXT1_EEEvE4typeEPKT_PT0_PS3_.private_seg_size, 0
	.set _Z28segmented_warp_reduce_kernelIhhLj31ELj100EENSt9enable_ifIXsr15benchmark_utilsE35device_test_enabled_for_warp_size_vIXT1_EEEvE4typeEPKT_PT0_PS3_.uses_vcc, 1
	.set _Z28segmented_warp_reduce_kernelIhhLj31ELj100EENSt9enable_ifIXsr15benchmark_utilsE35device_test_enabled_for_warp_size_vIXT1_EEEvE4typeEPKT_PT0_PS3_.uses_flat_scratch, 0
	.set _Z28segmented_warp_reduce_kernelIhhLj31ELj100EENSt9enable_ifIXsr15benchmark_utilsE35device_test_enabled_for_warp_size_vIXT1_EEEvE4typeEPKT_PT0_PS3_.has_dyn_sized_stack, 0
	.set _Z28segmented_warp_reduce_kernelIhhLj31ELj100EENSt9enable_ifIXsr15benchmark_utilsE35device_test_enabled_for_warp_size_vIXT1_EEEvE4typeEPKT_PT0_PS3_.has_recursion, 0
	.set _Z28segmented_warp_reduce_kernelIhhLj31ELj100EENSt9enable_ifIXsr15benchmark_utilsE35device_test_enabled_for_warp_size_vIXT1_EEEvE4typeEPKT_PT0_PS3_.has_indirect_call, 0
	.section	.AMDGPU.csdata,"",@progbits
; Kernel info:
; codeLenInByte = 436
; TotalNumSgprs: 16
; NumVgprs: 13
; ScratchSize: 0
; MemoryBound: 0
; FloatMode: 240
; IeeeMode: 1
; LDSByteSize: 31 bytes/workgroup (compile time only)
; SGPRBlocks: 1
; VGPRBlocks: 3
; NumSGPRsForWavesPerEU: 16
; NumVGPRsForWavesPerEU: 13
; Occupancy: 10
; WaveLimiterHint : 0
; COMPUTE_PGM_RSRC2:SCRATCH_EN: 0
; COMPUTE_PGM_RSRC2:USER_SGPR: 6
; COMPUTE_PGM_RSRC2:TRAP_HANDLER: 0
; COMPUTE_PGM_RSRC2:TGID_X_EN: 1
; COMPUTE_PGM_RSRC2:TGID_Y_EN: 0
; COMPUTE_PGM_RSRC2:TGID_Z_EN: 0
; COMPUTE_PGM_RSRC2:TIDIG_COMP_CNT: 0
	.section	.text._Z28segmented_warp_reduce_kernelIhhLj32ELj100EENSt9enable_ifIXsr15benchmark_utilsE35device_test_enabled_for_warp_size_vIXT1_EEEvE4typeEPKT_PT0_PS3_,"axG",@progbits,_Z28segmented_warp_reduce_kernelIhhLj32ELj100EENSt9enable_ifIXsr15benchmark_utilsE35device_test_enabled_for_warp_size_vIXT1_EEEvE4typeEPKT_PT0_PS3_,comdat
	.protected	_Z28segmented_warp_reduce_kernelIhhLj32ELj100EENSt9enable_ifIXsr15benchmark_utilsE35device_test_enabled_for_warp_size_vIXT1_EEEvE4typeEPKT_PT0_PS3_ ; -- Begin function _Z28segmented_warp_reduce_kernelIhhLj32ELj100EENSt9enable_ifIXsr15benchmark_utilsE35device_test_enabled_for_warp_size_vIXT1_EEEvE4typeEPKT_PT0_PS3_
	.globl	_Z28segmented_warp_reduce_kernelIhhLj32ELj100EENSt9enable_ifIXsr15benchmark_utilsE35device_test_enabled_for_warp_size_vIXT1_EEEvE4typeEPKT_PT0_PS3_
	.p2align	8
	.type	_Z28segmented_warp_reduce_kernelIhhLj32ELj100EENSt9enable_ifIXsr15benchmark_utilsE35device_test_enabled_for_warp_size_vIXT1_EEEvE4typeEPKT_PT0_PS3_,@function
_Z28segmented_warp_reduce_kernelIhhLj32ELj100EENSt9enable_ifIXsr15benchmark_utilsE35device_test_enabled_for_warp_size_vIXT1_EEEvE4typeEPKT_PT0_PS3_: ; @_Z28segmented_warp_reduce_kernelIhhLj32ELj100EENSt9enable_ifIXsr15benchmark_utilsE35device_test_enabled_for_warp_size_vIXT1_EEEvE4typeEPKT_PT0_PS3_
; %bb.0:
	s_load_dword s7, s[4:5], 0x24
	s_load_dwordx4 s[0:3], s[4:5], 0x0
	s_load_dwordx2 s[8:9], s[4:5], 0x10
	v_mbcnt_lo_u32_b32 v2, -1, 0
	v_mbcnt_hi_u32_b32 v9, -1, v2
	s_waitcnt lgkmcnt(0)
	s_and_b32 s4, s7, 0xffff
	s_mul_i32 s6, s6, s4
	v_add_u32_e32 v1, s6, v0
	global_load_ubyte v8, v1, s[2:3]
	global_load_ubyte v0, v1, s[0:1]
	v_and_b32_e32 v11, 31, v9
	v_cmp_ne_u32_e32 vcc, 31, v11
	v_addc_co_u32_e32 v3, vcc, 0, v9, vcc
	v_cmp_gt_u32_e32 vcc, 30, v11
	v_cndmask_b32_e64 v4, 0, 2, vcc
	v_cmp_gt_u32_e32 vcc, 28, v11
	v_cndmask_b32_e64 v5, 0, 4, vcc
	;; [unrolled: 2-line block ×3, first 2 shown]
	v_lshlrev_b64 v[6:7], v9, -1
	v_and_b32_e32 v10, 0x60, v9
	v_add_u32_e32 v12, 2, v11
	v_add_u32_e32 v13, 4, v11
	;; [unrolled: 1-line block ×4, first 2 shown]
	s_movk_i32 s10, 0x64
	v_lshl_or_b32 v2, v9, 2, 64
	v_lshlrev_b32_e32 v3, 2, v3
	v_add_lshl_u32 v4, v4, v9, 2
	v_add_lshl_u32 v5, v5, v9, 2
	s_waitcnt vmcnt(1)
	v_cmp_ne_u16_e32 vcc, 0, v8
	v_cndmask_b32_e64 v8, 0, 1, vcc
	v_cmp_ne_u32_e32 vcc, 0, v8
	s_lshr_b64 s[0:1], vcc, 1
	v_and_b32_e32 v7, s1, v7
	v_and_b32_e32 v6, s0, v6
	v_lshrrev_b64 v[7:8], v10, v[6:7]
	v_add_lshl_u32 v6, v15, v9, 2
	v_or_b32_e32 v7, 0x80000000, v7
	v_ffbl_b32_e32 v8, v8
	v_add_u32_e32 v8, 32, v8
	v_ffbl_b32_e32 v7, v7
	v_min_u32_e32 v7, v7, v8
	v_cmp_lt_u32_e32 vcc, v11, v7
	v_cmp_gt_u32_e64 s[0:1], v12, v7
	v_cmp_gt_u32_e64 s[2:3], v13, v7
	;; [unrolled: 1-line block ×3, first 2 shown]
	v_cmp_le_u32_e64 s[6:7], v16, v7
.LBB66_1:                               ; =>This Inner Loop Header: Depth=1
	s_waitcnt vmcnt(0)
	v_and_b32_e32 v7, 0xff, v0
	ds_bpermute_b32 v8, v3, v7
	s_add_i32 s10, s10, -1
	s_cmp_eq_u32 s10, 0
	s_waitcnt lgkmcnt(0)
	v_add_u16_e32 v8, v0, v8
	v_and_b32_e32 v9, 0xff, v8
	v_cndmask_b32_e32 v7, v7, v9, vcc
	ds_bpermute_b32 v9, v4, v7
	v_cndmask_b32_e32 v8, v0, v8, vcc
	s_waitcnt lgkmcnt(0)
	v_add_u16_e32 v9, v8, v9
	v_and_b32_e32 v10, 0xff, v9
	v_cndmask_b32_e64 v7, v10, v7, s[0:1]
	ds_bpermute_b32 v10, v5, v7
	v_cndmask_b32_e64 v8, v9, v8, s[0:1]
	s_waitcnt lgkmcnt(0)
	v_add_u16_e32 v9, v8, v10
	v_and_b32_e32 v10, 0xff, v9
	v_cndmask_b32_e64 v7, v10, v7, s[2:3]
	ds_bpermute_b32 v10, v6, v7
	v_cndmask_b32_e64 v8, v9, v8, s[2:3]
	;; [unrolled: 6-line block ×3, first 2 shown]
	s_waitcnt lgkmcnt(0)
	v_cndmask_b32_e64 v7, 0, v7, s[6:7]
	v_add_u16_e32 v7, v8, v7
	v_cndmask_b32_e32 v0, v0, v7, vcc
	s_cbranch_scc0 .LBB66_1
; %bb.2:
	v_mov_b32_e32 v2, s9
	v_add_co_u32_e32 v1, vcc, s8, v1
	v_addc_co_u32_e32 v2, vcc, 0, v2, vcc
	global_store_byte v[1:2], v0, off
	s_endpgm
	.section	.rodata,"a",@progbits
	.p2align	6, 0x0
	.amdhsa_kernel _Z28segmented_warp_reduce_kernelIhhLj32ELj100EENSt9enable_ifIXsr15benchmark_utilsE35device_test_enabled_for_warp_size_vIXT1_EEEvE4typeEPKT_PT0_PS3_
		.amdhsa_group_segment_fixed_size 0
		.amdhsa_private_segment_fixed_size 0
		.amdhsa_kernarg_size 280
		.amdhsa_user_sgpr_count 6
		.amdhsa_user_sgpr_private_segment_buffer 1
		.amdhsa_user_sgpr_dispatch_ptr 0
		.amdhsa_user_sgpr_queue_ptr 0
		.amdhsa_user_sgpr_kernarg_segment_ptr 1
		.amdhsa_user_sgpr_dispatch_id 0
		.amdhsa_user_sgpr_flat_scratch_init 0
		.amdhsa_user_sgpr_private_segment_size 0
		.amdhsa_uses_dynamic_stack 0
		.amdhsa_system_sgpr_private_segment_wavefront_offset 0
		.amdhsa_system_sgpr_workgroup_id_x 1
		.amdhsa_system_sgpr_workgroup_id_y 0
		.amdhsa_system_sgpr_workgroup_id_z 0
		.amdhsa_system_sgpr_workgroup_info 0
		.amdhsa_system_vgpr_workitem_id 0
		.amdhsa_next_free_vgpr 17
		.amdhsa_next_free_sgpr 11
		.amdhsa_reserve_vcc 1
		.amdhsa_reserve_flat_scratch 0
		.amdhsa_float_round_mode_32 0
		.amdhsa_float_round_mode_16_64 0
		.amdhsa_float_denorm_mode_32 3
		.amdhsa_float_denorm_mode_16_64 3
		.amdhsa_dx10_clamp 1
		.amdhsa_ieee_mode 1
		.amdhsa_fp16_overflow 0
		.amdhsa_exception_fp_ieee_invalid_op 0
		.amdhsa_exception_fp_denorm_src 0
		.amdhsa_exception_fp_ieee_div_zero 0
		.amdhsa_exception_fp_ieee_overflow 0
		.amdhsa_exception_fp_ieee_underflow 0
		.amdhsa_exception_fp_ieee_inexact 0
		.amdhsa_exception_int_div_zero 0
	.end_amdhsa_kernel
	.section	.text._Z28segmented_warp_reduce_kernelIhhLj32ELj100EENSt9enable_ifIXsr15benchmark_utilsE35device_test_enabled_for_warp_size_vIXT1_EEEvE4typeEPKT_PT0_PS3_,"axG",@progbits,_Z28segmented_warp_reduce_kernelIhhLj32ELj100EENSt9enable_ifIXsr15benchmark_utilsE35device_test_enabled_for_warp_size_vIXT1_EEEvE4typeEPKT_PT0_PS3_,comdat
.Lfunc_end66:
	.size	_Z28segmented_warp_reduce_kernelIhhLj32ELj100EENSt9enable_ifIXsr15benchmark_utilsE35device_test_enabled_for_warp_size_vIXT1_EEEvE4typeEPKT_PT0_PS3_, .Lfunc_end66-_Z28segmented_warp_reduce_kernelIhhLj32ELj100EENSt9enable_ifIXsr15benchmark_utilsE35device_test_enabled_for_warp_size_vIXT1_EEEvE4typeEPKT_PT0_PS3_
                                        ; -- End function
	.set _Z28segmented_warp_reduce_kernelIhhLj32ELj100EENSt9enable_ifIXsr15benchmark_utilsE35device_test_enabled_for_warp_size_vIXT1_EEEvE4typeEPKT_PT0_PS3_.num_vgpr, 17
	.set _Z28segmented_warp_reduce_kernelIhhLj32ELj100EENSt9enable_ifIXsr15benchmark_utilsE35device_test_enabled_for_warp_size_vIXT1_EEEvE4typeEPKT_PT0_PS3_.num_agpr, 0
	.set _Z28segmented_warp_reduce_kernelIhhLj32ELj100EENSt9enable_ifIXsr15benchmark_utilsE35device_test_enabled_for_warp_size_vIXT1_EEEvE4typeEPKT_PT0_PS3_.numbered_sgpr, 11
	.set _Z28segmented_warp_reduce_kernelIhhLj32ELj100EENSt9enable_ifIXsr15benchmark_utilsE35device_test_enabled_for_warp_size_vIXT1_EEEvE4typeEPKT_PT0_PS3_.num_named_barrier, 0
	.set _Z28segmented_warp_reduce_kernelIhhLj32ELj100EENSt9enable_ifIXsr15benchmark_utilsE35device_test_enabled_for_warp_size_vIXT1_EEEvE4typeEPKT_PT0_PS3_.private_seg_size, 0
	.set _Z28segmented_warp_reduce_kernelIhhLj32ELj100EENSt9enable_ifIXsr15benchmark_utilsE35device_test_enabled_for_warp_size_vIXT1_EEEvE4typeEPKT_PT0_PS3_.uses_vcc, 1
	.set _Z28segmented_warp_reduce_kernelIhhLj32ELj100EENSt9enable_ifIXsr15benchmark_utilsE35device_test_enabled_for_warp_size_vIXT1_EEEvE4typeEPKT_PT0_PS3_.uses_flat_scratch, 0
	.set _Z28segmented_warp_reduce_kernelIhhLj32ELj100EENSt9enable_ifIXsr15benchmark_utilsE35device_test_enabled_for_warp_size_vIXT1_EEEvE4typeEPKT_PT0_PS3_.has_dyn_sized_stack, 0
	.set _Z28segmented_warp_reduce_kernelIhhLj32ELj100EENSt9enable_ifIXsr15benchmark_utilsE35device_test_enabled_for_warp_size_vIXT1_EEEvE4typeEPKT_PT0_PS3_.has_recursion, 0
	.set _Z28segmented_warp_reduce_kernelIhhLj32ELj100EENSt9enable_ifIXsr15benchmark_utilsE35device_test_enabled_for_warp_size_vIXT1_EEEvE4typeEPKT_PT0_PS3_.has_indirect_call, 0
	.section	.AMDGPU.csdata,"",@progbits
; Kernel info:
; codeLenInByte = 524
; TotalNumSgprs: 15
; NumVgprs: 17
; ScratchSize: 0
; MemoryBound: 0
; FloatMode: 240
; IeeeMode: 1
; LDSByteSize: 0 bytes/workgroup (compile time only)
; SGPRBlocks: 1
; VGPRBlocks: 4
; NumSGPRsForWavesPerEU: 15
; NumVGPRsForWavesPerEU: 17
; Occupancy: 10
; WaveLimiterHint : 0
; COMPUTE_PGM_RSRC2:SCRATCH_EN: 0
; COMPUTE_PGM_RSRC2:USER_SGPR: 6
; COMPUTE_PGM_RSRC2:TRAP_HANDLER: 0
; COMPUTE_PGM_RSRC2:TGID_X_EN: 1
; COMPUTE_PGM_RSRC2:TGID_Y_EN: 0
; COMPUTE_PGM_RSRC2:TGID_Z_EN: 0
; COMPUTE_PGM_RSRC2:TIDIG_COMP_CNT: 0
	.section	.text._Z28segmented_warp_reduce_kernelIhhLj37ELj100EENSt9enable_ifIXsr15benchmark_utilsE35device_test_enabled_for_warp_size_vIXT1_EEEvE4typeEPKT_PT0_PS3_,"axG",@progbits,_Z28segmented_warp_reduce_kernelIhhLj37ELj100EENSt9enable_ifIXsr15benchmark_utilsE35device_test_enabled_for_warp_size_vIXT1_EEEvE4typeEPKT_PT0_PS3_,comdat
	.protected	_Z28segmented_warp_reduce_kernelIhhLj37ELj100EENSt9enable_ifIXsr15benchmark_utilsE35device_test_enabled_for_warp_size_vIXT1_EEEvE4typeEPKT_PT0_PS3_ ; -- Begin function _Z28segmented_warp_reduce_kernelIhhLj37ELj100EENSt9enable_ifIXsr15benchmark_utilsE35device_test_enabled_for_warp_size_vIXT1_EEEvE4typeEPKT_PT0_PS3_
	.globl	_Z28segmented_warp_reduce_kernelIhhLj37ELj100EENSt9enable_ifIXsr15benchmark_utilsE35device_test_enabled_for_warp_size_vIXT1_EEEvE4typeEPKT_PT0_PS3_
	.p2align	8
	.type	_Z28segmented_warp_reduce_kernelIhhLj37ELj100EENSt9enable_ifIXsr15benchmark_utilsE35device_test_enabled_for_warp_size_vIXT1_EEEvE4typeEPKT_PT0_PS3_,@function
_Z28segmented_warp_reduce_kernelIhhLj37ELj100EENSt9enable_ifIXsr15benchmark_utilsE35device_test_enabled_for_warp_size_vIXT1_EEEvE4typeEPKT_PT0_PS3_: ; @_Z28segmented_warp_reduce_kernelIhhLj37ELj100EENSt9enable_ifIXsr15benchmark_utilsE35device_test_enabled_for_warp_size_vIXT1_EEEvE4typeEPKT_PT0_PS3_
; %bb.0:
	s_load_dword s2, s[4:5], 0x24
	s_load_dwordx4 s[8:11], s[4:5], 0x0
	s_load_dwordx2 s[0:1], s[4:5], 0x10
	s_movk_i32 s4, 0x64
	s_waitcnt lgkmcnt(0)
	s_and_b32 s2, s2, 0xffff
	s_mul_i32 s6, s6, s2
	v_add_u32_e32 v3, s6, v0
	global_load_ubyte v11, v3, s[10:11]
	global_load_ubyte v2, v3, s[8:9]
	v_mbcnt_lo_u32_b32 v0, -1, 0
	s_mov_b32 s2, 0x6eb3e46
	v_mbcnt_hi_u32_b32 v5, -1, v0
	v_mul_hi_u32 v4, v5, s2
	v_lshlrev_b64 v[0:1], v5, -1
	v_mul_u32_u24_e32 v4, 37, v4
	v_sub_u32_e32 v5, v5, v4
	v_add_u32_e32 v6, 2, v5
	v_add_u32_e32 v7, 4, v5
	;; [unrolled: 1-line block ×5, first 2 shown]
	s_waitcnt vmcnt(1)
	v_cmp_ne_u16_e32 vcc, 0, v11
	v_cndmask_b32_e64 v11, 0, 1, vcc
	s_branch .LBB67_2
.LBB67_1:                               ;   in Loop: Header=BB67_2 Depth=1
	s_or_b64 exec, exec, s[2:3]
	s_add_i32 s4, s4, -1
	s_cmp_eq_u32 s4, 0
	; wave barrier
	s_cbranch_scc1 .LBB67_14
.LBB67_2:                               ; =>This Inner Loop Header: Depth=1
	v_cmp_ne_u32_e32 vcc, 0, v11
	s_lshr_b64 s[2:3], vcc, 1
	v_and_b32_e32 v13, s3, v1
	v_and_b32_e32 v12, s2, v0
	v_lshrrev_b64 v[12:13], v4, v[12:13]
	s_waitcnt vmcnt(0)
	ds_write_b8 v5, v2
	v_or_b32_e32 v13, 16, v13
	v_ffbl_b32_e32 v13, v13
	v_add_u32_e32 v13, 32, v13
	v_ffbl_b32_e32 v12, v12
	v_min_u32_e32 v12, v12, v13
	v_cmp_lt_u32_e32 vcc, v5, v12
	; wave barrier
	s_and_saveexec_b64 s[2:3], vcc
	s_cbranch_execz .LBB67_4
; %bb.3:                                ;   in Loop: Header=BB67_2 Depth=1
	ds_read_u8 v13, v5 offset:1
	s_waitcnt lgkmcnt(0)
	v_add_u16_e32 v2, v13, v2
.LBB67_4:                               ;   in Loop: Header=BB67_2 Depth=1
	s_or_b64 exec, exec, s[2:3]
	v_cmp_le_u32_e32 vcc, v6, v12
	; wave barrier
	ds_write_b8 v5, v2
	; wave barrier
	s_and_saveexec_b64 s[2:3], vcc
	s_cbranch_execz .LBB67_6
; %bb.5:                                ;   in Loop: Header=BB67_2 Depth=1
	ds_read_u8 v13, v5 offset:2
	s_waitcnt lgkmcnt(0)
	v_add_u16_e32 v2, v13, v2
.LBB67_6:                               ;   in Loop: Header=BB67_2 Depth=1
	s_or_b64 exec, exec, s[2:3]
	v_cmp_le_u32_e32 vcc, v7, v12
	; wave barrier
	ds_write_b8 v5, v2
	;; [unrolled: 12-line block ×3, first 2 shown]
	; wave barrier
	s_and_saveexec_b64 s[2:3], vcc
	s_cbranch_execz .LBB67_10
; %bb.9:                                ;   in Loop: Header=BB67_2 Depth=1
	ds_read_u8 v13, v5 offset:8
	s_waitcnt lgkmcnt(0)
	v_add_u16_e32 v2, v13, v2
.LBB67_10:                              ;   in Loop: Header=BB67_2 Depth=1
	s_or_b64 exec, exec, s[2:3]
	v_cmp_le_u32_e32 vcc, v9, v12
	; wave barrier
	ds_write_b8 v5, v2
	; wave barrier
	s_and_saveexec_b64 s[2:3], vcc
	s_cbranch_execz .LBB67_12
; %bb.11:                               ;   in Loop: Header=BB67_2 Depth=1
	ds_read_u8 v13, v5 offset:16
	s_waitcnt lgkmcnt(0)
	v_add_u16_e32 v2, v13, v2
.LBB67_12:                              ;   in Loop: Header=BB67_2 Depth=1
	s_or_b64 exec, exec, s[2:3]
	v_cmp_le_u32_e32 vcc, v10, v12
	; wave barrier
	ds_write_b8 v5, v2
	; wave barrier
	s_and_saveexec_b64 s[2:3], vcc
	s_cbranch_execz .LBB67_1
; %bb.13:                               ;   in Loop: Header=BB67_2 Depth=1
	ds_read_u8 v12, v5 offset:32
	s_waitcnt lgkmcnt(0)
	v_add_u16_e32 v2, v12, v2
	s_branch .LBB67_1
.LBB67_14:
	v_mov_b32_e32 v1, s1
	v_add_co_u32_e32 v0, vcc, s0, v3
	v_addc_co_u32_e32 v1, vcc, 0, v1, vcc
	global_store_byte v[0:1], v2, off
	s_endpgm
	.section	.rodata,"a",@progbits
	.p2align	6, 0x0
	.amdhsa_kernel _Z28segmented_warp_reduce_kernelIhhLj37ELj100EENSt9enable_ifIXsr15benchmark_utilsE35device_test_enabled_for_warp_size_vIXT1_EEEvE4typeEPKT_PT0_PS3_
		.amdhsa_group_segment_fixed_size 37
		.amdhsa_private_segment_fixed_size 0
		.amdhsa_kernarg_size 280
		.amdhsa_user_sgpr_count 6
		.amdhsa_user_sgpr_private_segment_buffer 1
		.amdhsa_user_sgpr_dispatch_ptr 0
		.amdhsa_user_sgpr_queue_ptr 0
		.amdhsa_user_sgpr_kernarg_segment_ptr 1
		.amdhsa_user_sgpr_dispatch_id 0
		.amdhsa_user_sgpr_flat_scratch_init 0
		.amdhsa_user_sgpr_private_segment_size 0
		.amdhsa_uses_dynamic_stack 0
		.amdhsa_system_sgpr_private_segment_wavefront_offset 0
		.amdhsa_system_sgpr_workgroup_id_x 1
		.amdhsa_system_sgpr_workgroup_id_y 0
		.amdhsa_system_sgpr_workgroup_id_z 0
		.amdhsa_system_sgpr_workgroup_info 0
		.amdhsa_system_vgpr_workitem_id 0
		.amdhsa_next_free_vgpr 14
		.amdhsa_next_free_sgpr 12
		.amdhsa_reserve_vcc 1
		.amdhsa_reserve_flat_scratch 0
		.amdhsa_float_round_mode_32 0
		.amdhsa_float_round_mode_16_64 0
		.amdhsa_float_denorm_mode_32 3
		.amdhsa_float_denorm_mode_16_64 3
		.amdhsa_dx10_clamp 1
		.amdhsa_ieee_mode 1
		.amdhsa_fp16_overflow 0
		.amdhsa_exception_fp_ieee_invalid_op 0
		.amdhsa_exception_fp_denorm_src 0
		.amdhsa_exception_fp_ieee_div_zero 0
		.amdhsa_exception_fp_ieee_overflow 0
		.amdhsa_exception_fp_ieee_underflow 0
		.amdhsa_exception_fp_ieee_inexact 0
		.amdhsa_exception_int_div_zero 0
	.end_amdhsa_kernel
	.section	.text._Z28segmented_warp_reduce_kernelIhhLj37ELj100EENSt9enable_ifIXsr15benchmark_utilsE35device_test_enabled_for_warp_size_vIXT1_EEEvE4typeEPKT_PT0_PS3_,"axG",@progbits,_Z28segmented_warp_reduce_kernelIhhLj37ELj100EENSt9enable_ifIXsr15benchmark_utilsE35device_test_enabled_for_warp_size_vIXT1_EEEvE4typeEPKT_PT0_PS3_,comdat
.Lfunc_end67:
	.size	_Z28segmented_warp_reduce_kernelIhhLj37ELj100EENSt9enable_ifIXsr15benchmark_utilsE35device_test_enabled_for_warp_size_vIXT1_EEEvE4typeEPKT_PT0_PS3_, .Lfunc_end67-_Z28segmented_warp_reduce_kernelIhhLj37ELj100EENSt9enable_ifIXsr15benchmark_utilsE35device_test_enabled_for_warp_size_vIXT1_EEEvE4typeEPKT_PT0_PS3_
                                        ; -- End function
	.set _Z28segmented_warp_reduce_kernelIhhLj37ELj100EENSt9enable_ifIXsr15benchmark_utilsE35device_test_enabled_for_warp_size_vIXT1_EEEvE4typeEPKT_PT0_PS3_.num_vgpr, 14
	.set _Z28segmented_warp_reduce_kernelIhhLj37ELj100EENSt9enable_ifIXsr15benchmark_utilsE35device_test_enabled_for_warp_size_vIXT1_EEEvE4typeEPKT_PT0_PS3_.num_agpr, 0
	.set _Z28segmented_warp_reduce_kernelIhhLj37ELj100EENSt9enable_ifIXsr15benchmark_utilsE35device_test_enabled_for_warp_size_vIXT1_EEEvE4typeEPKT_PT0_PS3_.numbered_sgpr, 12
	.set _Z28segmented_warp_reduce_kernelIhhLj37ELj100EENSt9enable_ifIXsr15benchmark_utilsE35device_test_enabled_for_warp_size_vIXT1_EEEvE4typeEPKT_PT0_PS3_.num_named_barrier, 0
	.set _Z28segmented_warp_reduce_kernelIhhLj37ELj100EENSt9enable_ifIXsr15benchmark_utilsE35device_test_enabled_for_warp_size_vIXT1_EEEvE4typeEPKT_PT0_PS3_.private_seg_size, 0
	.set _Z28segmented_warp_reduce_kernelIhhLj37ELj100EENSt9enable_ifIXsr15benchmark_utilsE35device_test_enabled_for_warp_size_vIXT1_EEEvE4typeEPKT_PT0_PS3_.uses_vcc, 1
	.set _Z28segmented_warp_reduce_kernelIhhLj37ELj100EENSt9enable_ifIXsr15benchmark_utilsE35device_test_enabled_for_warp_size_vIXT1_EEEvE4typeEPKT_PT0_PS3_.uses_flat_scratch, 0
	.set _Z28segmented_warp_reduce_kernelIhhLj37ELj100EENSt9enable_ifIXsr15benchmark_utilsE35device_test_enabled_for_warp_size_vIXT1_EEEvE4typeEPKT_PT0_PS3_.has_dyn_sized_stack, 0
	.set _Z28segmented_warp_reduce_kernelIhhLj37ELj100EENSt9enable_ifIXsr15benchmark_utilsE35device_test_enabled_for_warp_size_vIXT1_EEEvE4typeEPKT_PT0_PS3_.has_recursion, 0
	.set _Z28segmented_warp_reduce_kernelIhhLj37ELj100EENSt9enable_ifIXsr15benchmark_utilsE35device_test_enabled_for_warp_size_vIXT1_EEEvE4typeEPKT_PT0_PS3_.has_indirect_call, 0
	.section	.AMDGPU.csdata,"",@progbits
; Kernel info:
; codeLenInByte = 480
; TotalNumSgprs: 16
; NumVgprs: 14
; ScratchSize: 0
; MemoryBound: 0
; FloatMode: 240
; IeeeMode: 1
; LDSByteSize: 37 bytes/workgroup (compile time only)
; SGPRBlocks: 1
; VGPRBlocks: 3
; NumSGPRsForWavesPerEU: 16
; NumVGPRsForWavesPerEU: 14
; Occupancy: 10
; WaveLimiterHint : 0
; COMPUTE_PGM_RSRC2:SCRATCH_EN: 0
; COMPUTE_PGM_RSRC2:USER_SGPR: 6
; COMPUTE_PGM_RSRC2:TRAP_HANDLER: 0
; COMPUTE_PGM_RSRC2:TGID_X_EN: 1
; COMPUTE_PGM_RSRC2:TGID_Y_EN: 0
; COMPUTE_PGM_RSRC2:TGID_Z_EN: 0
; COMPUTE_PGM_RSRC2:TIDIG_COMP_CNT: 0
	.section	.text._Z28segmented_warp_reduce_kernelIhhLj61ELj100EENSt9enable_ifIXsr15benchmark_utilsE35device_test_enabled_for_warp_size_vIXT1_EEEvE4typeEPKT_PT0_PS3_,"axG",@progbits,_Z28segmented_warp_reduce_kernelIhhLj61ELj100EENSt9enable_ifIXsr15benchmark_utilsE35device_test_enabled_for_warp_size_vIXT1_EEEvE4typeEPKT_PT0_PS3_,comdat
	.protected	_Z28segmented_warp_reduce_kernelIhhLj61ELj100EENSt9enable_ifIXsr15benchmark_utilsE35device_test_enabled_for_warp_size_vIXT1_EEEvE4typeEPKT_PT0_PS3_ ; -- Begin function _Z28segmented_warp_reduce_kernelIhhLj61ELj100EENSt9enable_ifIXsr15benchmark_utilsE35device_test_enabled_for_warp_size_vIXT1_EEEvE4typeEPKT_PT0_PS3_
	.globl	_Z28segmented_warp_reduce_kernelIhhLj61ELj100EENSt9enable_ifIXsr15benchmark_utilsE35device_test_enabled_for_warp_size_vIXT1_EEEvE4typeEPKT_PT0_PS3_
	.p2align	8
	.type	_Z28segmented_warp_reduce_kernelIhhLj61ELj100EENSt9enable_ifIXsr15benchmark_utilsE35device_test_enabled_for_warp_size_vIXT1_EEEvE4typeEPKT_PT0_PS3_,@function
_Z28segmented_warp_reduce_kernelIhhLj61ELj100EENSt9enable_ifIXsr15benchmark_utilsE35device_test_enabled_for_warp_size_vIXT1_EEEvE4typeEPKT_PT0_PS3_: ; @_Z28segmented_warp_reduce_kernelIhhLj61ELj100EENSt9enable_ifIXsr15benchmark_utilsE35device_test_enabled_for_warp_size_vIXT1_EEEvE4typeEPKT_PT0_PS3_
; %bb.0:
	s_load_dword s2, s[4:5], 0x24
	s_load_dwordx4 s[8:11], s[4:5], 0x0
	s_load_dwordx2 s[0:1], s[4:5], 0x10
	s_movk_i32 s4, 0x64
	s_waitcnt lgkmcnt(0)
	s_and_b32 s2, s2, 0xffff
	s_mul_i32 s6, s6, s2
	v_add_u32_e32 v3, s6, v0
	global_load_ubyte v11, v3, s[10:11]
	global_load_ubyte v2, v3, s[8:9]
	v_mbcnt_lo_u32_b32 v0, -1, 0
	s_mov_b32 s2, 0x4325c54
	v_mbcnt_hi_u32_b32 v5, -1, v0
	v_mul_hi_u32 v4, v5, s2
	v_lshlrev_b64 v[0:1], v5, -1
	v_mul_u32_u24_e32 v4, 61, v4
	v_sub_u32_e32 v5, v5, v4
	v_add_u32_e32 v6, 2, v5
	v_add_u32_e32 v7, 4, v5
	;; [unrolled: 1-line block ×5, first 2 shown]
	s_waitcnt vmcnt(1)
	v_cmp_ne_u16_e32 vcc, 0, v11
	v_cndmask_b32_e64 v11, 0, 1, vcc
	s_branch .LBB68_2
.LBB68_1:                               ;   in Loop: Header=BB68_2 Depth=1
	s_or_b64 exec, exec, s[2:3]
	s_add_i32 s4, s4, -1
	s_cmp_eq_u32 s4, 0
	; wave barrier
	s_cbranch_scc1 .LBB68_14
.LBB68_2:                               ; =>This Inner Loop Header: Depth=1
	v_cmp_ne_u32_e32 vcc, 0, v11
	s_lshr_b64 s[2:3], vcc, 1
	v_and_b32_e32 v13, s3, v1
	v_and_b32_e32 v12, s2, v0
	v_lshrrev_b64 v[12:13], v4, v[12:13]
	s_waitcnt vmcnt(0)
	ds_write_b8 v5, v2
	v_or_b32_e32 v13, 0x10000000, v13
	v_ffbl_b32_e32 v13, v13
	v_add_u32_e32 v13, 32, v13
	v_ffbl_b32_e32 v12, v12
	v_min_u32_e32 v12, v12, v13
	v_cmp_lt_u32_e32 vcc, v5, v12
	; wave barrier
	s_and_saveexec_b64 s[2:3], vcc
	s_cbranch_execz .LBB68_4
; %bb.3:                                ;   in Loop: Header=BB68_2 Depth=1
	ds_read_u8 v13, v5 offset:1
	s_waitcnt lgkmcnt(0)
	v_add_u16_e32 v2, v13, v2
.LBB68_4:                               ;   in Loop: Header=BB68_2 Depth=1
	s_or_b64 exec, exec, s[2:3]
	v_cmp_le_u32_e32 vcc, v6, v12
	; wave barrier
	ds_write_b8 v5, v2
	; wave barrier
	s_and_saveexec_b64 s[2:3], vcc
	s_cbranch_execz .LBB68_6
; %bb.5:                                ;   in Loop: Header=BB68_2 Depth=1
	ds_read_u8 v13, v5 offset:2
	s_waitcnt lgkmcnt(0)
	v_add_u16_e32 v2, v13, v2
.LBB68_6:                               ;   in Loop: Header=BB68_2 Depth=1
	s_or_b64 exec, exec, s[2:3]
	v_cmp_le_u32_e32 vcc, v7, v12
	; wave barrier
	ds_write_b8 v5, v2
	;; [unrolled: 12-line block ×3, first 2 shown]
	; wave barrier
	s_and_saveexec_b64 s[2:3], vcc
	s_cbranch_execz .LBB68_10
; %bb.9:                                ;   in Loop: Header=BB68_2 Depth=1
	ds_read_u8 v13, v5 offset:8
	s_waitcnt lgkmcnt(0)
	v_add_u16_e32 v2, v13, v2
.LBB68_10:                              ;   in Loop: Header=BB68_2 Depth=1
	s_or_b64 exec, exec, s[2:3]
	v_cmp_le_u32_e32 vcc, v9, v12
	; wave barrier
	ds_write_b8 v5, v2
	; wave barrier
	s_and_saveexec_b64 s[2:3], vcc
	s_cbranch_execz .LBB68_12
; %bb.11:                               ;   in Loop: Header=BB68_2 Depth=1
	ds_read_u8 v13, v5 offset:16
	s_waitcnt lgkmcnt(0)
	v_add_u16_e32 v2, v13, v2
.LBB68_12:                              ;   in Loop: Header=BB68_2 Depth=1
	s_or_b64 exec, exec, s[2:3]
	v_cmp_le_u32_e32 vcc, v10, v12
	; wave barrier
	ds_write_b8 v5, v2
	; wave barrier
	s_and_saveexec_b64 s[2:3], vcc
	s_cbranch_execz .LBB68_1
; %bb.13:                               ;   in Loop: Header=BB68_2 Depth=1
	ds_read_u8 v12, v5 offset:32
	s_waitcnt lgkmcnt(0)
	v_add_u16_e32 v2, v12, v2
	s_branch .LBB68_1
.LBB68_14:
	v_mov_b32_e32 v1, s1
	v_add_co_u32_e32 v0, vcc, s0, v3
	v_addc_co_u32_e32 v1, vcc, 0, v1, vcc
	global_store_byte v[0:1], v2, off
	s_endpgm
	.section	.rodata,"a",@progbits
	.p2align	6, 0x0
	.amdhsa_kernel _Z28segmented_warp_reduce_kernelIhhLj61ELj100EENSt9enable_ifIXsr15benchmark_utilsE35device_test_enabled_for_warp_size_vIXT1_EEEvE4typeEPKT_PT0_PS3_
		.amdhsa_group_segment_fixed_size 61
		.amdhsa_private_segment_fixed_size 0
		.amdhsa_kernarg_size 280
		.amdhsa_user_sgpr_count 6
		.amdhsa_user_sgpr_private_segment_buffer 1
		.amdhsa_user_sgpr_dispatch_ptr 0
		.amdhsa_user_sgpr_queue_ptr 0
		.amdhsa_user_sgpr_kernarg_segment_ptr 1
		.amdhsa_user_sgpr_dispatch_id 0
		.amdhsa_user_sgpr_flat_scratch_init 0
		.amdhsa_user_sgpr_private_segment_size 0
		.amdhsa_uses_dynamic_stack 0
		.amdhsa_system_sgpr_private_segment_wavefront_offset 0
		.amdhsa_system_sgpr_workgroup_id_x 1
		.amdhsa_system_sgpr_workgroup_id_y 0
		.amdhsa_system_sgpr_workgroup_id_z 0
		.amdhsa_system_sgpr_workgroup_info 0
		.amdhsa_system_vgpr_workitem_id 0
		.amdhsa_next_free_vgpr 14
		.amdhsa_next_free_sgpr 12
		.amdhsa_reserve_vcc 1
		.amdhsa_reserve_flat_scratch 0
		.amdhsa_float_round_mode_32 0
		.amdhsa_float_round_mode_16_64 0
		.amdhsa_float_denorm_mode_32 3
		.amdhsa_float_denorm_mode_16_64 3
		.amdhsa_dx10_clamp 1
		.amdhsa_ieee_mode 1
		.amdhsa_fp16_overflow 0
		.amdhsa_exception_fp_ieee_invalid_op 0
		.amdhsa_exception_fp_denorm_src 0
		.amdhsa_exception_fp_ieee_div_zero 0
		.amdhsa_exception_fp_ieee_overflow 0
		.amdhsa_exception_fp_ieee_underflow 0
		.amdhsa_exception_fp_ieee_inexact 0
		.amdhsa_exception_int_div_zero 0
	.end_amdhsa_kernel
	.section	.text._Z28segmented_warp_reduce_kernelIhhLj61ELj100EENSt9enable_ifIXsr15benchmark_utilsE35device_test_enabled_for_warp_size_vIXT1_EEEvE4typeEPKT_PT0_PS3_,"axG",@progbits,_Z28segmented_warp_reduce_kernelIhhLj61ELj100EENSt9enable_ifIXsr15benchmark_utilsE35device_test_enabled_for_warp_size_vIXT1_EEEvE4typeEPKT_PT0_PS3_,comdat
.Lfunc_end68:
	.size	_Z28segmented_warp_reduce_kernelIhhLj61ELj100EENSt9enable_ifIXsr15benchmark_utilsE35device_test_enabled_for_warp_size_vIXT1_EEEvE4typeEPKT_PT0_PS3_, .Lfunc_end68-_Z28segmented_warp_reduce_kernelIhhLj61ELj100EENSt9enable_ifIXsr15benchmark_utilsE35device_test_enabled_for_warp_size_vIXT1_EEEvE4typeEPKT_PT0_PS3_
                                        ; -- End function
	.set _Z28segmented_warp_reduce_kernelIhhLj61ELj100EENSt9enable_ifIXsr15benchmark_utilsE35device_test_enabled_for_warp_size_vIXT1_EEEvE4typeEPKT_PT0_PS3_.num_vgpr, 14
	.set _Z28segmented_warp_reduce_kernelIhhLj61ELj100EENSt9enable_ifIXsr15benchmark_utilsE35device_test_enabled_for_warp_size_vIXT1_EEEvE4typeEPKT_PT0_PS3_.num_agpr, 0
	.set _Z28segmented_warp_reduce_kernelIhhLj61ELj100EENSt9enable_ifIXsr15benchmark_utilsE35device_test_enabled_for_warp_size_vIXT1_EEEvE4typeEPKT_PT0_PS3_.numbered_sgpr, 12
	.set _Z28segmented_warp_reduce_kernelIhhLj61ELj100EENSt9enable_ifIXsr15benchmark_utilsE35device_test_enabled_for_warp_size_vIXT1_EEEvE4typeEPKT_PT0_PS3_.num_named_barrier, 0
	.set _Z28segmented_warp_reduce_kernelIhhLj61ELj100EENSt9enable_ifIXsr15benchmark_utilsE35device_test_enabled_for_warp_size_vIXT1_EEEvE4typeEPKT_PT0_PS3_.private_seg_size, 0
	.set _Z28segmented_warp_reduce_kernelIhhLj61ELj100EENSt9enable_ifIXsr15benchmark_utilsE35device_test_enabled_for_warp_size_vIXT1_EEEvE4typeEPKT_PT0_PS3_.uses_vcc, 1
	.set _Z28segmented_warp_reduce_kernelIhhLj61ELj100EENSt9enable_ifIXsr15benchmark_utilsE35device_test_enabled_for_warp_size_vIXT1_EEEvE4typeEPKT_PT0_PS3_.uses_flat_scratch, 0
	.set _Z28segmented_warp_reduce_kernelIhhLj61ELj100EENSt9enable_ifIXsr15benchmark_utilsE35device_test_enabled_for_warp_size_vIXT1_EEEvE4typeEPKT_PT0_PS3_.has_dyn_sized_stack, 0
	.set _Z28segmented_warp_reduce_kernelIhhLj61ELj100EENSt9enable_ifIXsr15benchmark_utilsE35device_test_enabled_for_warp_size_vIXT1_EEEvE4typeEPKT_PT0_PS3_.has_recursion, 0
	.set _Z28segmented_warp_reduce_kernelIhhLj61ELj100EENSt9enable_ifIXsr15benchmark_utilsE35device_test_enabled_for_warp_size_vIXT1_EEEvE4typeEPKT_PT0_PS3_.has_indirect_call, 0
	.section	.AMDGPU.csdata,"",@progbits
; Kernel info:
; codeLenInByte = 484
; TotalNumSgprs: 16
; NumVgprs: 14
; ScratchSize: 0
; MemoryBound: 0
; FloatMode: 240
; IeeeMode: 1
; LDSByteSize: 61 bytes/workgroup (compile time only)
; SGPRBlocks: 1
; VGPRBlocks: 3
; NumSGPRsForWavesPerEU: 16
; NumVGPRsForWavesPerEU: 14
; Occupancy: 10
; WaveLimiterHint : 0
; COMPUTE_PGM_RSRC2:SCRATCH_EN: 0
; COMPUTE_PGM_RSRC2:USER_SGPR: 6
; COMPUTE_PGM_RSRC2:TRAP_HANDLER: 0
; COMPUTE_PGM_RSRC2:TGID_X_EN: 1
; COMPUTE_PGM_RSRC2:TGID_Y_EN: 0
; COMPUTE_PGM_RSRC2:TGID_Z_EN: 0
; COMPUTE_PGM_RSRC2:TIDIG_COMP_CNT: 0
	.section	.text._Z28segmented_warp_reduce_kernelIhhLj64ELj100EENSt9enable_ifIXsr15benchmark_utilsE35device_test_enabled_for_warp_size_vIXT1_EEEvE4typeEPKT_PT0_PS3_,"axG",@progbits,_Z28segmented_warp_reduce_kernelIhhLj64ELj100EENSt9enable_ifIXsr15benchmark_utilsE35device_test_enabled_for_warp_size_vIXT1_EEEvE4typeEPKT_PT0_PS3_,comdat
	.protected	_Z28segmented_warp_reduce_kernelIhhLj64ELj100EENSt9enable_ifIXsr15benchmark_utilsE35device_test_enabled_for_warp_size_vIXT1_EEEvE4typeEPKT_PT0_PS3_ ; -- Begin function _Z28segmented_warp_reduce_kernelIhhLj64ELj100EENSt9enable_ifIXsr15benchmark_utilsE35device_test_enabled_for_warp_size_vIXT1_EEEvE4typeEPKT_PT0_PS3_
	.globl	_Z28segmented_warp_reduce_kernelIhhLj64ELj100EENSt9enable_ifIXsr15benchmark_utilsE35device_test_enabled_for_warp_size_vIXT1_EEEvE4typeEPKT_PT0_PS3_
	.p2align	8
	.type	_Z28segmented_warp_reduce_kernelIhhLj64ELj100EENSt9enable_ifIXsr15benchmark_utilsE35device_test_enabled_for_warp_size_vIXT1_EEEvE4typeEPKT_PT0_PS3_,@function
_Z28segmented_warp_reduce_kernelIhhLj64ELj100EENSt9enable_ifIXsr15benchmark_utilsE35device_test_enabled_for_warp_size_vIXT1_EEEvE4typeEPKT_PT0_PS3_: ; @_Z28segmented_warp_reduce_kernelIhhLj64ELj100EENSt9enable_ifIXsr15benchmark_utilsE35device_test_enabled_for_warp_size_vIXT1_EEEvE4typeEPKT_PT0_PS3_
; %bb.0:
	s_load_dword s7, s[4:5], 0x24
	s_load_dwordx4 s[0:3], s[4:5], 0x0
	s_load_dwordx2 s[12:13], s[4:5], 0x10
	v_mbcnt_lo_u32_b32 v2, -1, 0
	v_mbcnt_hi_u32_b32 v7, -1, v2
	s_waitcnt lgkmcnt(0)
	s_and_b32 s4, s7, 0xffff
	s_mul_i32 s6, s6, s4
	v_add_u32_e32 v1, s6, v0
	global_load_ubyte v10, v1, s[2:3]
	global_load_ubyte v0, v1, s[0:1]
	v_and_b32_e32 v4, 63, v7
	v_mov_b32_e32 v3, 0x80
	v_cmp_ne_u32_e32 vcc, 63, v4
	v_lshl_or_b32 v2, v7, 2, v3
	v_addc_co_u32_e32 v3, vcc, 0, v7, vcc
	v_cmp_gt_u32_e32 vcc, 62, v4
	v_cndmask_b32_e64 v5, 0, 2, vcc
	v_cmp_gt_u32_e32 vcc, 60, v4
	v_cndmask_b32_e64 v6, 0, 4, vcc
	;; [unrolled: 2-line block ×4, first 2 shown]
	v_lshlrev_b64 v[8:9], v7, -1
	v_add_u32_e32 v11, 1, v7
	v_add_u32_e32 v12, 2, v7
	;; [unrolled: 1-line block ×6, first 2 shown]
	s_movk_i32 s14, 0x64
	v_lshlrev_b32_e32 v3, 2, v3
	v_add_lshl_u32 v4, v5, v7, 2
	v_add_lshl_u32 v5, v6, v7, 2
	;; [unrolled: 1-line block ×4, first 2 shown]
	s_waitcnt vmcnt(1)
	v_cmp_ne_u16_e32 vcc, 0, v10
	v_cndmask_b32_e64 v10, 0, 1, vcc
	v_cmp_ne_u32_e32 vcc, 0, v10
	s_lshr_b64 s[0:1], vcc, 1
	v_and_b32_e32 v9, s1, v9
	v_or_b32_e32 v9, 0x80000000, v9
	v_and_b32_e32 v8, s0, v8
	v_ffbl_b32_e32 v9, v9
	v_ffbl_b32_e32 v8, v8
	v_add_u32_e32 v9, 32, v9
	v_min_u32_e32 v8, v8, v9
	v_cmp_le_u32_e32 vcc, v11, v8
	v_cmp_le_u32_e64 s[0:1], v12, v8
	v_cmp_le_u32_e64 s[2:3], v13, v8
	s_or_b64 s[8:9], vcc, s[0:1]
	v_cmp_le_u32_e64 s[4:5], v14, v8
	s_or_b64 s[8:9], s[2:3], s[8:9]
	v_cmp_le_u32_e64 s[6:7], v15, v8
	s_or_b64 s[8:9], s[4:5], s[8:9]
	s_or_b64 s[10:11], s[6:7], s[8:9]
	v_cmp_le_u32_e64 s[8:9], v16, v8
	s_or_b64 s[10:11], s[8:9], s[10:11]
.LBB69_1:                               ; =>This Inner Loop Header: Depth=1
	s_waitcnt vmcnt(0)
	v_and_b32_e32 v8, 0xff, v0
	ds_bpermute_b32 v9, v3, v8
	s_add_i32 s14, s14, -1
	s_cmp_eq_u32 s14, 0
	s_waitcnt lgkmcnt(0)
	v_add_u16_e32 v9, v0, v9
	v_and_b32_e32 v10, 0xff, v9
	v_cndmask_b32_e32 v8, v8, v10, vcc
	ds_bpermute_b32 v10, v4, v8
	v_cndmask_b32_e32 v9, v0, v9, vcc
	s_waitcnt lgkmcnt(0)
	v_add_u16_e32 v10, v9, v10
	v_and_b32_e32 v11, 0xff, v10
	v_cndmask_b32_e64 v8, v8, v11, s[0:1]
	ds_bpermute_b32 v11, v5, v8
	v_cndmask_b32_e64 v9, v9, v10, s[0:1]
	s_waitcnt lgkmcnt(0)
	v_add_u16_e32 v10, v9, v11
	v_and_b32_e32 v11, 0xff, v10
	v_cndmask_b32_e64 v8, v8, v11, s[2:3]
	ds_bpermute_b32 v11, v6, v8
	v_cndmask_b32_e64 v9, v9, v10, s[2:3]
	;; [unrolled: 6-line block ×4, first 2 shown]
	s_waitcnt lgkmcnt(0)
	v_cndmask_b32_e64 v8, 0, v8, s[8:9]
	v_add_u16_e32 v8, v9, v8
	v_cndmask_b32_e64 v0, v0, v8, s[10:11]
	s_cbranch_scc0 .LBB69_1
; %bb.2:
	v_mov_b32_e32 v2, s13
	v_add_co_u32_e32 v1, vcc, s12, v1
	v_addc_co_u32_e32 v2, vcc, 0, v2, vcc
	global_store_byte v[1:2], v0, off
	s_endpgm
	.section	.rodata,"a",@progbits
	.p2align	6, 0x0
	.amdhsa_kernel _Z28segmented_warp_reduce_kernelIhhLj64ELj100EENSt9enable_ifIXsr15benchmark_utilsE35device_test_enabled_for_warp_size_vIXT1_EEEvE4typeEPKT_PT0_PS3_
		.amdhsa_group_segment_fixed_size 0
		.amdhsa_private_segment_fixed_size 0
		.amdhsa_kernarg_size 280
		.amdhsa_user_sgpr_count 6
		.amdhsa_user_sgpr_private_segment_buffer 1
		.amdhsa_user_sgpr_dispatch_ptr 0
		.amdhsa_user_sgpr_queue_ptr 0
		.amdhsa_user_sgpr_kernarg_segment_ptr 1
		.amdhsa_user_sgpr_dispatch_id 0
		.amdhsa_user_sgpr_flat_scratch_init 0
		.amdhsa_user_sgpr_private_segment_size 0
		.amdhsa_uses_dynamic_stack 0
		.amdhsa_system_sgpr_private_segment_wavefront_offset 0
		.amdhsa_system_sgpr_workgroup_id_x 1
		.amdhsa_system_sgpr_workgroup_id_y 0
		.amdhsa_system_sgpr_workgroup_id_z 0
		.amdhsa_system_sgpr_workgroup_info 0
		.amdhsa_system_vgpr_workitem_id 0
		.amdhsa_next_free_vgpr 19
		.amdhsa_next_free_sgpr 15
		.amdhsa_reserve_vcc 1
		.amdhsa_reserve_flat_scratch 0
		.amdhsa_float_round_mode_32 0
		.amdhsa_float_round_mode_16_64 0
		.amdhsa_float_denorm_mode_32 3
		.amdhsa_float_denorm_mode_16_64 3
		.amdhsa_dx10_clamp 1
		.amdhsa_ieee_mode 1
		.amdhsa_fp16_overflow 0
		.amdhsa_exception_fp_ieee_invalid_op 0
		.amdhsa_exception_fp_denorm_src 0
		.amdhsa_exception_fp_ieee_div_zero 0
		.amdhsa_exception_fp_ieee_overflow 0
		.amdhsa_exception_fp_ieee_underflow 0
		.amdhsa_exception_fp_ieee_inexact 0
		.amdhsa_exception_int_div_zero 0
	.end_amdhsa_kernel
	.section	.text._Z28segmented_warp_reduce_kernelIhhLj64ELj100EENSt9enable_ifIXsr15benchmark_utilsE35device_test_enabled_for_warp_size_vIXT1_EEEvE4typeEPKT_PT0_PS3_,"axG",@progbits,_Z28segmented_warp_reduce_kernelIhhLj64ELj100EENSt9enable_ifIXsr15benchmark_utilsE35device_test_enabled_for_warp_size_vIXT1_EEEvE4typeEPKT_PT0_PS3_,comdat
.Lfunc_end69:
	.size	_Z28segmented_warp_reduce_kernelIhhLj64ELj100EENSt9enable_ifIXsr15benchmark_utilsE35device_test_enabled_for_warp_size_vIXT1_EEEvE4typeEPKT_PT0_PS3_, .Lfunc_end69-_Z28segmented_warp_reduce_kernelIhhLj64ELj100EENSt9enable_ifIXsr15benchmark_utilsE35device_test_enabled_for_warp_size_vIXT1_EEEvE4typeEPKT_PT0_PS3_
                                        ; -- End function
	.set _Z28segmented_warp_reduce_kernelIhhLj64ELj100EENSt9enable_ifIXsr15benchmark_utilsE35device_test_enabled_for_warp_size_vIXT1_EEEvE4typeEPKT_PT0_PS3_.num_vgpr, 19
	.set _Z28segmented_warp_reduce_kernelIhhLj64ELj100EENSt9enable_ifIXsr15benchmark_utilsE35device_test_enabled_for_warp_size_vIXT1_EEEvE4typeEPKT_PT0_PS3_.num_agpr, 0
	.set _Z28segmented_warp_reduce_kernelIhhLj64ELj100EENSt9enable_ifIXsr15benchmark_utilsE35device_test_enabled_for_warp_size_vIXT1_EEEvE4typeEPKT_PT0_PS3_.numbered_sgpr, 15
	.set _Z28segmented_warp_reduce_kernelIhhLj64ELj100EENSt9enable_ifIXsr15benchmark_utilsE35device_test_enabled_for_warp_size_vIXT1_EEEvE4typeEPKT_PT0_PS3_.num_named_barrier, 0
	.set _Z28segmented_warp_reduce_kernelIhhLj64ELj100EENSt9enable_ifIXsr15benchmark_utilsE35device_test_enabled_for_warp_size_vIXT1_EEEvE4typeEPKT_PT0_PS3_.private_seg_size, 0
	.set _Z28segmented_warp_reduce_kernelIhhLj64ELj100EENSt9enable_ifIXsr15benchmark_utilsE35device_test_enabled_for_warp_size_vIXT1_EEEvE4typeEPKT_PT0_PS3_.uses_vcc, 1
	.set _Z28segmented_warp_reduce_kernelIhhLj64ELj100EENSt9enable_ifIXsr15benchmark_utilsE35device_test_enabled_for_warp_size_vIXT1_EEEvE4typeEPKT_PT0_PS3_.uses_flat_scratch, 0
	.set _Z28segmented_warp_reduce_kernelIhhLj64ELj100EENSt9enable_ifIXsr15benchmark_utilsE35device_test_enabled_for_warp_size_vIXT1_EEEvE4typeEPKT_PT0_PS3_.has_dyn_sized_stack, 0
	.set _Z28segmented_warp_reduce_kernelIhhLj64ELj100EENSt9enable_ifIXsr15benchmark_utilsE35device_test_enabled_for_warp_size_vIXT1_EEEvE4typeEPKT_PT0_PS3_.has_recursion, 0
	.set _Z28segmented_warp_reduce_kernelIhhLj64ELj100EENSt9enable_ifIXsr15benchmark_utilsE35device_test_enabled_for_warp_size_vIXT1_EEEvE4typeEPKT_PT0_PS3_.has_indirect_call, 0
	.section	.AMDGPU.csdata,"",@progbits
; Kernel info:
; codeLenInByte = 616
; TotalNumSgprs: 19
; NumVgprs: 19
; ScratchSize: 0
; MemoryBound: 0
; FloatMode: 240
; IeeeMode: 1
; LDSByteSize: 0 bytes/workgroup (compile time only)
; SGPRBlocks: 2
; VGPRBlocks: 4
; NumSGPRsForWavesPerEU: 19
; NumVGPRsForWavesPerEU: 19
; Occupancy: 10
; WaveLimiterHint : 0
; COMPUTE_PGM_RSRC2:SCRATCH_EN: 0
; COMPUTE_PGM_RSRC2:USER_SGPR: 6
; COMPUTE_PGM_RSRC2:TRAP_HANDLER: 0
; COMPUTE_PGM_RSRC2:TGID_X_EN: 1
; COMPUTE_PGM_RSRC2:TGID_Y_EN: 0
; COMPUTE_PGM_RSRC2:TGID_Z_EN: 0
; COMPUTE_PGM_RSRC2:TIDIG_COMP_CNT: 0
	.section	.AMDGPU.gpr_maximums,"",@progbits
	.set amdgpu.max_num_vgpr, 0
	.set amdgpu.max_num_agpr, 0
	.set amdgpu.max_num_sgpr, 0
	.section	.AMDGPU.csdata,"",@progbits
	.type	__hip_cuid_8f1efb8fb97558bd,@object ; @__hip_cuid_8f1efb8fb97558bd
	.section	.bss,"aw",@nobits
	.globl	__hip_cuid_8f1efb8fb97558bd
__hip_cuid_8f1efb8fb97558bd:
	.byte	0                               ; 0x0
	.size	__hip_cuid_8f1efb8fb97558bd, 1

	.ident	"AMD clang version 22.0.0git (https://github.com/RadeonOpenCompute/llvm-project roc-7.2.4 26084 f58b06dce1f9c15707c5f808fd002e18c2accf7e)"
	.section	".note.GNU-stack","",@progbits
	.addrsig
	.addrsig_sym __hip_cuid_8f1efb8fb97558bd
	.amdgpu_metadata
---
amdhsa.kernels:
  - .args:
      - .address_space:  global
        .offset:         0
        .size:           8
        .value_kind:     global_buffer
      - .address_space:  global
        .offset:         8
        .size:           8
        .value_kind:     global_buffer
      - .offset:         16
        .size:           4
        .value_kind:     hidden_block_count_x
      - .offset:         20
        .size:           4
        .value_kind:     hidden_block_count_y
      - .offset:         24
        .size:           4
        .value_kind:     hidden_block_count_z
      - .offset:         28
        .size:           2
        .value_kind:     hidden_group_size_x
      - .offset:         30
        .size:           2
        .value_kind:     hidden_group_size_y
      - .offset:         32
        .size:           2
        .value_kind:     hidden_group_size_z
      - .offset:         34
        .size:           2
        .value_kind:     hidden_remainder_x
      - .offset:         36
        .size:           2
        .value_kind:     hidden_remainder_y
      - .offset:         38
        .size:           2
        .value_kind:     hidden_remainder_z
      - .offset:         56
        .size:           8
        .value_kind:     hidden_global_offset_x
      - .offset:         64
        .size:           8
        .value_kind:     hidden_global_offset_y
      - .offset:         72
        .size:           8
        .value_kind:     hidden_global_offset_z
      - .offset:         80
        .size:           2
        .value_kind:     hidden_grid_dims
    .group_segment_fixed_size: 60
    .kernarg_segment_align: 8
    .kernarg_segment_size: 272
    .language:       OpenCL C
    .language_version:
      - 2
      - 0
    .max_flat_workgroup_size: 64
    .name:           _Z18warp_reduce_kernelIiLj15ELj100EENSt9enable_ifIXsr15benchmark_utilsE35device_test_enabled_for_warp_size_vIXT0_EEEvE4typeEPKT_PS3_
    .private_segment_fixed_size: 0
    .sgpr_count:     16
    .sgpr_spill_count: 0
    .symbol:         _Z18warp_reduce_kernelIiLj15ELj100EENSt9enable_ifIXsr15benchmark_utilsE35device_test_enabled_for_warp_size_vIXT0_EEEvE4typeEPKT_PS3_.kd
    .uniform_work_group_size: 1
    .uses_dynamic_stack: false
    .vgpr_count:     6
    .vgpr_spill_count: 0
    .wavefront_size: 64
  - .args:
      - .address_space:  global
        .offset:         0
        .size:           8
        .value_kind:     global_buffer
      - .address_space:  global
        .offset:         8
        .size:           8
        .value_kind:     global_buffer
      - .offset:         16
        .size:           4
        .value_kind:     hidden_block_count_x
      - .offset:         20
        .size:           4
        .value_kind:     hidden_block_count_y
      - .offset:         24
        .size:           4
        .value_kind:     hidden_block_count_z
      - .offset:         28
        .size:           2
        .value_kind:     hidden_group_size_x
      - .offset:         30
        .size:           2
        .value_kind:     hidden_group_size_y
      - .offset:         32
        .size:           2
        .value_kind:     hidden_group_size_z
      - .offset:         34
        .size:           2
        .value_kind:     hidden_remainder_x
      - .offset:         36
        .size:           2
        .value_kind:     hidden_remainder_y
      - .offset:         38
        .size:           2
        .value_kind:     hidden_remainder_z
      - .offset:         56
        .size:           8
        .value_kind:     hidden_global_offset_x
      - .offset:         64
        .size:           8
        .value_kind:     hidden_global_offset_y
      - .offset:         72
        .size:           8
        .value_kind:     hidden_global_offset_z
      - .offset:         80
        .size:           2
        .value_kind:     hidden_grid_dims
    .group_segment_fixed_size: 0
    .kernarg_segment_align: 8
    .kernarg_segment_size: 272
    .language:       OpenCL C
    .language_version:
      - 2
      - 0
    .max_flat_workgroup_size: 64
    .name:           _Z18warp_reduce_kernelIiLj16ELj100EENSt9enable_ifIXsr15benchmark_utilsE35device_test_enabled_for_warp_size_vIXT0_EEEvE4typeEPKT_PS3_
    .private_segment_fixed_size: 0
    .sgpr_count:     12
    .sgpr_spill_count: 0
    .symbol:         _Z18warp_reduce_kernelIiLj16ELj100EENSt9enable_ifIXsr15benchmark_utilsE35device_test_enabled_for_warp_size_vIXT0_EEEvE4typeEPKT_PS3_.kd
    .uniform_work_group_size: 1
    .uses_dynamic_stack: false
    .vgpr_count:     8
    .vgpr_spill_count: 0
    .wavefront_size: 64
  - .args:
      - .address_space:  global
        .offset:         0
        .size:           8
        .value_kind:     global_buffer
      - .address_space:  global
        .offset:         8
        .size:           8
        .value_kind:     global_buffer
      - .offset:         16
        .size:           4
        .value_kind:     hidden_block_count_x
      - .offset:         20
        .size:           4
        .value_kind:     hidden_block_count_y
      - .offset:         24
        .size:           4
        .value_kind:     hidden_block_count_z
      - .offset:         28
        .size:           2
        .value_kind:     hidden_group_size_x
      - .offset:         30
        .size:           2
        .value_kind:     hidden_group_size_y
      - .offset:         32
        .size:           2
        .value_kind:     hidden_group_size_z
      - .offset:         34
        .size:           2
        .value_kind:     hidden_remainder_x
      - .offset:         36
        .size:           2
        .value_kind:     hidden_remainder_y
      - .offset:         38
        .size:           2
        .value_kind:     hidden_remainder_z
      - .offset:         56
        .size:           8
        .value_kind:     hidden_global_offset_x
      - .offset:         64
        .size:           8
        .value_kind:     hidden_global_offset_y
      - .offset:         72
        .size:           8
        .value_kind:     hidden_global_offset_z
      - .offset:         80
        .size:           2
        .value_kind:     hidden_grid_dims
    .group_segment_fixed_size: 124
    .kernarg_segment_align: 8
    .kernarg_segment_size: 272
    .language:       OpenCL C
    .language_version:
      - 2
      - 0
    .max_flat_workgroup_size: 64
    .name:           _Z18warp_reduce_kernelIiLj31ELj100EENSt9enable_ifIXsr15benchmark_utilsE35device_test_enabled_for_warp_size_vIXT0_EEEvE4typeEPKT_PS3_
    .private_segment_fixed_size: 0
    .sgpr_count:     17
    .sgpr_spill_count: 0
    .symbol:         _Z18warp_reduce_kernelIiLj31ELj100EENSt9enable_ifIXsr15benchmark_utilsE35device_test_enabled_for_warp_size_vIXT0_EEEvE4typeEPKT_PS3_.kd
    .uniform_work_group_size: 1
    .uses_dynamic_stack: false
    .vgpr_count:     6
    .vgpr_spill_count: 0
    .wavefront_size: 64
  - .args:
      - .address_space:  global
        .offset:         0
        .size:           8
        .value_kind:     global_buffer
      - .address_space:  global
        .offset:         8
        .size:           8
        .value_kind:     global_buffer
      - .offset:         16
        .size:           4
        .value_kind:     hidden_block_count_x
      - .offset:         20
        .size:           4
        .value_kind:     hidden_block_count_y
      - .offset:         24
        .size:           4
        .value_kind:     hidden_block_count_z
      - .offset:         28
        .size:           2
        .value_kind:     hidden_group_size_x
      - .offset:         30
        .size:           2
        .value_kind:     hidden_group_size_y
      - .offset:         32
        .size:           2
        .value_kind:     hidden_group_size_z
      - .offset:         34
        .size:           2
        .value_kind:     hidden_remainder_x
      - .offset:         36
        .size:           2
        .value_kind:     hidden_remainder_y
      - .offset:         38
        .size:           2
        .value_kind:     hidden_remainder_z
      - .offset:         56
        .size:           8
        .value_kind:     hidden_global_offset_x
      - .offset:         64
        .size:           8
        .value_kind:     hidden_global_offset_y
      - .offset:         72
        .size:           8
        .value_kind:     hidden_global_offset_z
      - .offset:         80
        .size:           2
        .value_kind:     hidden_grid_dims
    .group_segment_fixed_size: 0
    .kernarg_segment_align: 8
    .kernarg_segment_size: 272
    .language:       OpenCL C
    .language_version:
      - 2
      - 0
    .max_flat_workgroup_size: 64
    .name:           _Z18warp_reduce_kernelIiLj32ELj100EENSt9enable_ifIXsr15benchmark_utilsE35device_test_enabled_for_warp_size_vIXT0_EEEvE4typeEPKT_PS3_
    .private_segment_fixed_size: 0
    .sgpr_count:     12
    .sgpr_spill_count: 0
    .symbol:         _Z18warp_reduce_kernelIiLj32ELj100EENSt9enable_ifIXsr15benchmark_utilsE35device_test_enabled_for_warp_size_vIXT0_EEEvE4typeEPKT_PS3_.kd
    .uniform_work_group_size: 1
    .uses_dynamic_stack: false
    .vgpr_count:     9
    .vgpr_spill_count: 0
    .wavefront_size: 64
  - .args:
      - .address_space:  global
        .offset:         0
        .size:           8
        .value_kind:     global_buffer
      - .address_space:  global
        .offset:         8
        .size:           8
        .value_kind:     global_buffer
      - .offset:         16
        .size:           4
        .value_kind:     hidden_block_count_x
      - .offset:         20
        .size:           4
        .value_kind:     hidden_block_count_y
      - .offset:         24
        .size:           4
        .value_kind:     hidden_block_count_z
      - .offset:         28
        .size:           2
        .value_kind:     hidden_group_size_x
      - .offset:         30
        .size:           2
        .value_kind:     hidden_group_size_y
      - .offset:         32
        .size:           2
        .value_kind:     hidden_group_size_z
      - .offset:         34
        .size:           2
        .value_kind:     hidden_remainder_x
      - .offset:         36
        .size:           2
        .value_kind:     hidden_remainder_y
      - .offset:         38
        .size:           2
        .value_kind:     hidden_remainder_z
      - .offset:         56
        .size:           8
        .value_kind:     hidden_global_offset_x
      - .offset:         64
        .size:           8
        .value_kind:     hidden_global_offset_y
      - .offset:         72
        .size:           8
        .value_kind:     hidden_global_offset_z
      - .offset:         80
        .size:           2
        .value_kind:     hidden_grid_dims
    .group_segment_fixed_size: 148
    .kernarg_segment_align: 8
    .kernarg_segment_size: 272
    .language:       OpenCL C
    .language_version:
      - 2
      - 0
    .max_flat_workgroup_size: 64
    .name:           _Z18warp_reduce_kernelIiLj37ELj100EENSt9enable_ifIXsr15benchmark_utilsE35device_test_enabled_for_warp_size_vIXT0_EEEvE4typeEPKT_PS3_
    .private_segment_fixed_size: 0
    .sgpr_count:     19
    .sgpr_spill_count: 0
    .symbol:         _Z18warp_reduce_kernelIiLj37ELj100EENSt9enable_ifIXsr15benchmark_utilsE35device_test_enabled_for_warp_size_vIXT0_EEEvE4typeEPKT_PS3_.kd
    .uniform_work_group_size: 1
    .uses_dynamic_stack: false
    .vgpr_count:     6
    .vgpr_spill_count: 0
    .wavefront_size: 64
  - .args:
      - .address_space:  global
        .offset:         0
        .size:           8
        .value_kind:     global_buffer
      - .address_space:  global
        .offset:         8
        .size:           8
        .value_kind:     global_buffer
      - .offset:         16
        .size:           4
        .value_kind:     hidden_block_count_x
      - .offset:         20
        .size:           4
        .value_kind:     hidden_block_count_y
      - .offset:         24
        .size:           4
        .value_kind:     hidden_block_count_z
      - .offset:         28
        .size:           2
        .value_kind:     hidden_group_size_x
      - .offset:         30
        .size:           2
        .value_kind:     hidden_group_size_y
      - .offset:         32
        .size:           2
        .value_kind:     hidden_group_size_z
      - .offset:         34
        .size:           2
        .value_kind:     hidden_remainder_x
      - .offset:         36
        .size:           2
        .value_kind:     hidden_remainder_y
      - .offset:         38
        .size:           2
        .value_kind:     hidden_remainder_z
      - .offset:         56
        .size:           8
        .value_kind:     hidden_global_offset_x
      - .offset:         64
        .size:           8
        .value_kind:     hidden_global_offset_y
      - .offset:         72
        .size:           8
        .value_kind:     hidden_global_offset_z
      - .offset:         80
        .size:           2
        .value_kind:     hidden_grid_dims
    .group_segment_fixed_size: 244
    .kernarg_segment_align: 8
    .kernarg_segment_size: 272
    .language:       OpenCL C
    .language_version:
      - 2
      - 0
    .max_flat_workgroup_size: 64
    .name:           _Z18warp_reduce_kernelIiLj61ELj100EENSt9enable_ifIXsr15benchmark_utilsE35device_test_enabled_for_warp_size_vIXT0_EEEvE4typeEPKT_PS3_
    .private_segment_fixed_size: 0
    .sgpr_count:     19
    .sgpr_spill_count: 0
    .symbol:         _Z18warp_reduce_kernelIiLj61ELj100EENSt9enable_ifIXsr15benchmark_utilsE35device_test_enabled_for_warp_size_vIXT0_EEEvE4typeEPKT_PS3_.kd
    .uniform_work_group_size: 1
    .uses_dynamic_stack: false
    .vgpr_count:     6
    .vgpr_spill_count: 0
    .wavefront_size: 64
  - .args:
      - .address_space:  global
        .offset:         0
        .size:           8
        .value_kind:     global_buffer
      - .address_space:  global
        .offset:         8
        .size:           8
        .value_kind:     global_buffer
      - .offset:         16
        .size:           4
        .value_kind:     hidden_block_count_x
      - .offset:         20
        .size:           4
        .value_kind:     hidden_block_count_y
      - .offset:         24
        .size:           4
        .value_kind:     hidden_block_count_z
      - .offset:         28
        .size:           2
        .value_kind:     hidden_group_size_x
      - .offset:         30
        .size:           2
        .value_kind:     hidden_group_size_y
      - .offset:         32
        .size:           2
        .value_kind:     hidden_group_size_z
      - .offset:         34
        .size:           2
        .value_kind:     hidden_remainder_x
      - .offset:         36
        .size:           2
        .value_kind:     hidden_remainder_y
      - .offset:         38
        .size:           2
        .value_kind:     hidden_remainder_z
      - .offset:         56
        .size:           8
        .value_kind:     hidden_global_offset_x
      - .offset:         64
        .size:           8
        .value_kind:     hidden_global_offset_y
      - .offset:         72
        .size:           8
        .value_kind:     hidden_global_offset_z
      - .offset:         80
        .size:           2
        .value_kind:     hidden_grid_dims
    .group_segment_fixed_size: 0
    .kernarg_segment_align: 8
    .kernarg_segment_size: 272
    .language:       OpenCL C
    .language_version:
      - 2
      - 0
    .max_flat_workgroup_size: 64
    .name:           _Z18warp_reduce_kernelIiLj64ELj100EENSt9enable_ifIXsr15benchmark_utilsE35device_test_enabled_for_warp_size_vIXT0_EEEvE4typeEPKT_PS3_
    .private_segment_fixed_size: 0
    .sgpr_count:     12
    .sgpr_spill_count: 0
    .symbol:         _Z18warp_reduce_kernelIiLj64ELj100EENSt9enable_ifIXsr15benchmark_utilsE35device_test_enabled_for_warp_size_vIXT0_EEEvE4typeEPKT_PS3_.kd
    .uniform_work_group_size: 1
    .uses_dynamic_stack: false
    .vgpr_count:     5
    .vgpr_spill_count: 0
    .wavefront_size: 64
  - .args:
      - .address_space:  global
        .offset:         0
        .size:           8
        .value_kind:     global_buffer
      - .address_space:  global
        .offset:         8
        .size:           8
        .value_kind:     global_buffer
      - .offset:         16
        .size:           4
        .value_kind:     hidden_block_count_x
      - .offset:         20
        .size:           4
        .value_kind:     hidden_block_count_y
      - .offset:         24
        .size:           4
        .value_kind:     hidden_block_count_z
      - .offset:         28
        .size:           2
        .value_kind:     hidden_group_size_x
      - .offset:         30
        .size:           2
        .value_kind:     hidden_group_size_y
      - .offset:         32
        .size:           2
        .value_kind:     hidden_group_size_z
      - .offset:         34
        .size:           2
        .value_kind:     hidden_remainder_x
      - .offset:         36
        .size:           2
        .value_kind:     hidden_remainder_y
      - .offset:         38
        .size:           2
        .value_kind:     hidden_remainder_z
      - .offset:         56
        .size:           8
        .value_kind:     hidden_global_offset_x
      - .offset:         64
        .size:           8
        .value_kind:     hidden_global_offset_y
      - .offset:         72
        .size:           8
        .value_kind:     hidden_global_offset_z
      - .offset:         80
        .size:           2
        .value_kind:     hidden_grid_dims
    .group_segment_fixed_size: 60
    .kernarg_segment_align: 8
    .kernarg_segment_size: 272
    .language:       OpenCL C
    .language_version:
      - 2
      - 0
    .max_flat_workgroup_size: 64
    .name:           _Z18warp_reduce_kernelIfLj15ELj100EENSt9enable_ifIXsr15benchmark_utilsE35device_test_enabled_for_warp_size_vIXT0_EEEvE4typeEPKT_PS3_
    .private_segment_fixed_size: 0
    .sgpr_count:     16
    .sgpr_spill_count: 0
    .symbol:         _Z18warp_reduce_kernelIfLj15ELj100EENSt9enable_ifIXsr15benchmark_utilsE35device_test_enabled_for_warp_size_vIXT0_EEEvE4typeEPKT_PS3_.kd
    .uniform_work_group_size: 1
    .uses_dynamic_stack: false
    .vgpr_count:     6
    .vgpr_spill_count: 0
    .wavefront_size: 64
  - .args:
      - .address_space:  global
        .offset:         0
        .size:           8
        .value_kind:     global_buffer
      - .address_space:  global
        .offset:         8
        .size:           8
        .value_kind:     global_buffer
      - .offset:         16
        .size:           4
        .value_kind:     hidden_block_count_x
      - .offset:         20
        .size:           4
        .value_kind:     hidden_block_count_y
      - .offset:         24
        .size:           4
        .value_kind:     hidden_block_count_z
      - .offset:         28
        .size:           2
        .value_kind:     hidden_group_size_x
      - .offset:         30
        .size:           2
        .value_kind:     hidden_group_size_y
      - .offset:         32
        .size:           2
        .value_kind:     hidden_group_size_z
      - .offset:         34
        .size:           2
        .value_kind:     hidden_remainder_x
      - .offset:         36
        .size:           2
        .value_kind:     hidden_remainder_y
      - .offset:         38
        .size:           2
        .value_kind:     hidden_remainder_z
      - .offset:         56
        .size:           8
        .value_kind:     hidden_global_offset_x
      - .offset:         64
        .size:           8
        .value_kind:     hidden_global_offset_y
      - .offset:         72
        .size:           8
        .value_kind:     hidden_global_offset_z
      - .offset:         80
        .size:           2
        .value_kind:     hidden_grid_dims
    .group_segment_fixed_size: 0
    .kernarg_segment_align: 8
    .kernarg_segment_size: 272
    .language:       OpenCL C
    .language_version:
      - 2
      - 0
    .max_flat_workgroup_size: 64
    .name:           _Z18warp_reduce_kernelIfLj16ELj100EENSt9enable_ifIXsr15benchmark_utilsE35device_test_enabled_for_warp_size_vIXT0_EEEvE4typeEPKT_PS3_
    .private_segment_fixed_size: 0
    .sgpr_count:     12
    .sgpr_spill_count: 0
    .symbol:         _Z18warp_reduce_kernelIfLj16ELj100EENSt9enable_ifIXsr15benchmark_utilsE35device_test_enabled_for_warp_size_vIXT0_EEEvE4typeEPKT_PS3_.kd
    .uniform_work_group_size: 1
    .uses_dynamic_stack: false
    .vgpr_count:     8
    .vgpr_spill_count: 0
    .wavefront_size: 64
  - .args:
      - .address_space:  global
        .offset:         0
        .size:           8
        .value_kind:     global_buffer
      - .address_space:  global
        .offset:         8
        .size:           8
        .value_kind:     global_buffer
      - .offset:         16
        .size:           4
        .value_kind:     hidden_block_count_x
      - .offset:         20
        .size:           4
        .value_kind:     hidden_block_count_y
      - .offset:         24
        .size:           4
        .value_kind:     hidden_block_count_z
      - .offset:         28
        .size:           2
        .value_kind:     hidden_group_size_x
      - .offset:         30
        .size:           2
        .value_kind:     hidden_group_size_y
      - .offset:         32
        .size:           2
        .value_kind:     hidden_group_size_z
      - .offset:         34
        .size:           2
        .value_kind:     hidden_remainder_x
      - .offset:         36
        .size:           2
        .value_kind:     hidden_remainder_y
      - .offset:         38
        .size:           2
        .value_kind:     hidden_remainder_z
      - .offset:         56
        .size:           8
        .value_kind:     hidden_global_offset_x
      - .offset:         64
        .size:           8
        .value_kind:     hidden_global_offset_y
      - .offset:         72
        .size:           8
        .value_kind:     hidden_global_offset_z
      - .offset:         80
        .size:           2
        .value_kind:     hidden_grid_dims
    .group_segment_fixed_size: 124
    .kernarg_segment_align: 8
    .kernarg_segment_size: 272
    .language:       OpenCL C
    .language_version:
      - 2
      - 0
    .max_flat_workgroup_size: 64
    .name:           _Z18warp_reduce_kernelIfLj31ELj100EENSt9enable_ifIXsr15benchmark_utilsE35device_test_enabled_for_warp_size_vIXT0_EEEvE4typeEPKT_PS3_
    .private_segment_fixed_size: 0
    .sgpr_count:     17
    .sgpr_spill_count: 0
    .symbol:         _Z18warp_reduce_kernelIfLj31ELj100EENSt9enable_ifIXsr15benchmark_utilsE35device_test_enabled_for_warp_size_vIXT0_EEEvE4typeEPKT_PS3_.kd
    .uniform_work_group_size: 1
    .uses_dynamic_stack: false
    .vgpr_count:     6
    .vgpr_spill_count: 0
    .wavefront_size: 64
  - .args:
      - .address_space:  global
        .offset:         0
        .size:           8
        .value_kind:     global_buffer
      - .address_space:  global
        .offset:         8
        .size:           8
        .value_kind:     global_buffer
      - .offset:         16
        .size:           4
        .value_kind:     hidden_block_count_x
      - .offset:         20
        .size:           4
        .value_kind:     hidden_block_count_y
      - .offset:         24
        .size:           4
        .value_kind:     hidden_block_count_z
      - .offset:         28
        .size:           2
        .value_kind:     hidden_group_size_x
      - .offset:         30
        .size:           2
        .value_kind:     hidden_group_size_y
      - .offset:         32
        .size:           2
        .value_kind:     hidden_group_size_z
      - .offset:         34
        .size:           2
        .value_kind:     hidden_remainder_x
      - .offset:         36
        .size:           2
        .value_kind:     hidden_remainder_y
      - .offset:         38
        .size:           2
        .value_kind:     hidden_remainder_z
      - .offset:         56
        .size:           8
        .value_kind:     hidden_global_offset_x
      - .offset:         64
        .size:           8
        .value_kind:     hidden_global_offset_y
      - .offset:         72
        .size:           8
        .value_kind:     hidden_global_offset_z
      - .offset:         80
        .size:           2
        .value_kind:     hidden_grid_dims
    .group_segment_fixed_size: 0
    .kernarg_segment_align: 8
    .kernarg_segment_size: 272
    .language:       OpenCL C
    .language_version:
      - 2
      - 0
    .max_flat_workgroup_size: 64
    .name:           _Z18warp_reduce_kernelIfLj32ELj100EENSt9enable_ifIXsr15benchmark_utilsE35device_test_enabled_for_warp_size_vIXT0_EEEvE4typeEPKT_PS3_
    .private_segment_fixed_size: 0
    .sgpr_count:     12
    .sgpr_spill_count: 0
    .symbol:         _Z18warp_reduce_kernelIfLj32ELj100EENSt9enable_ifIXsr15benchmark_utilsE35device_test_enabled_for_warp_size_vIXT0_EEEvE4typeEPKT_PS3_.kd
    .uniform_work_group_size: 1
    .uses_dynamic_stack: false
    .vgpr_count:     9
    .vgpr_spill_count: 0
    .wavefront_size: 64
  - .args:
      - .address_space:  global
        .offset:         0
        .size:           8
        .value_kind:     global_buffer
      - .address_space:  global
        .offset:         8
        .size:           8
        .value_kind:     global_buffer
      - .offset:         16
        .size:           4
        .value_kind:     hidden_block_count_x
      - .offset:         20
        .size:           4
        .value_kind:     hidden_block_count_y
      - .offset:         24
        .size:           4
        .value_kind:     hidden_block_count_z
      - .offset:         28
        .size:           2
        .value_kind:     hidden_group_size_x
      - .offset:         30
        .size:           2
        .value_kind:     hidden_group_size_y
      - .offset:         32
        .size:           2
        .value_kind:     hidden_group_size_z
      - .offset:         34
        .size:           2
        .value_kind:     hidden_remainder_x
      - .offset:         36
        .size:           2
        .value_kind:     hidden_remainder_y
      - .offset:         38
        .size:           2
        .value_kind:     hidden_remainder_z
      - .offset:         56
        .size:           8
        .value_kind:     hidden_global_offset_x
      - .offset:         64
        .size:           8
        .value_kind:     hidden_global_offset_y
      - .offset:         72
        .size:           8
        .value_kind:     hidden_global_offset_z
      - .offset:         80
        .size:           2
        .value_kind:     hidden_grid_dims
    .group_segment_fixed_size: 148
    .kernarg_segment_align: 8
    .kernarg_segment_size: 272
    .language:       OpenCL C
    .language_version:
      - 2
      - 0
    .max_flat_workgroup_size: 64
    .name:           _Z18warp_reduce_kernelIfLj37ELj100EENSt9enable_ifIXsr15benchmark_utilsE35device_test_enabled_for_warp_size_vIXT0_EEEvE4typeEPKT_PS3_
    .private_segment_fixed_size: 0
    .sgpr_count:     19
    .sgpr_spill_count: 0
    .symbol:         _Z18warp_reduce_kernelIfLj37ELj100EENSt9enable_ifIXsr15benchmark_utilsE35device_test_enabled_for_warp_size_vIXT0_EEEvE4typeEPKT_PS3_.kd
    .uniform_work_group_size: 1
    .uses_dynamic_stack: false
    .vgpr_count:     6
    .vgpr_spill_count: 0
    .wavefront_size: 64
  - .args:
      - .address_space:  global
        .offset:         0
        .size:           8
        .value_kind:     global_buffer
      - .address_space:  global
        .offset:         8
        .size:           8
        .value_kind:     global_buffer
      - .offset:         16
        .size:           4
        .value_kind:     hidden_block_count_x
      - .offset:         20
        .size:           4
        .value_kind:     hidden_block_count_y
      - .offset:         24
        .size:           4
        .value_kind:     hidden_block_count_z
      - .offset:         28
        .size:           2
        .value_kind:     hidden_group_size_x
      - .offset:         30
        .size:           2
        .value_kind:     hidden_group_size_y
      - .offset:         32
        .size:           2
        .value_kind:     hidden_group_size_z
      - .offset:         34
        .size:           2
        .value_kind:     hidden_remainder_x
      - .offset:         36
        .size:           2
        .value_kind:     hidden_remainder_y
      - .offset:         38
        .size:           2
        .value_kind:     hidden_remainder_z
      - .offset:         56
        .size:           8
        .value_kind:     hidden_global_offset_x
      - .offset:         64
        .size:           8
        .value_kind:     hidden_global_offset_y
      - .offset:         72
        .size:           8
        .value_kind:     hidden_global_offset_z
      - .offset:         80
        .size:           2
        .value_kind:     hidden_grid_dims
    .group_segment_fixed_size: 244
    .kernarg_segment_align: 8
    .kernarg_segment_size: 272
    .language:       OpenCL C
    .language_version:
      - 2
      - 0
    .max_flat_workgroup_size: 64
    .name:           _Z18warp_reduce_kernelIfLj61ELj100EENSt9enable_ifIXsr15benchmark_utilsE35device_test_enabled_for_warp_size_vIXT0_EEEvE4typeEPKT_PS3_
    .private_segment_fixed_size: 0
    .sgpr_count:     19
    .sgpr_spill_count: 0
    .symbol:         _Z18warp_reduce_kernelIfLj61ELj100EENSt9enable_ifIXsr15benchmark_utilsE35device_test_enabled_for_warp_size_vIXT0_EEEvE4typeEPKT_PS3_.kd
    .uniform_work_group_size: 1
    .uses_dynamic_stack: false
    .vgpr_count:     6
    .vgpr_spill_count: 0
    .wavefront_size: 64
  - .args:
      - .address_space:  global
        .offset:         0
        .size:           8
        .value_kind:     global_buffer
      - .address_space:  global
        .offset:         8
        .size:           8
        .value_kind:     global_buffer
      - .offset:         16
        .size:           4
        .value_kind:     hidden_block_count_x
      - .offset:         20
        .size:           4
        .value_kind:     hidden_block_count_y
      - .offset:         24
        .size:           4
        .value_kind:     hidden_block_count_z
      - .offset:         28
        .size:           2
        .value_kind:     hidden_group_size_x
      - .offset:         30
        .size:           2
        .value_kind:     hidden_group_size_y
      - .offset:         32
        .size:           2
        .value_kind:     hidden_group_size_z
      - .offset:         34
        .size:           2
        .value_kind:     hidden_remainder_x
      - .offset:         36
        .size:           2
        .value_kind:     hidden_remainder_y
      - .offset:         38
        .size:           2
        .value_kind:     hidden_remainder_z
      - .offset:         56
        .size:           8
        .value_kind:     hidden_global_offset_x
      - .offset:         64
        .size:           8
        .value_kind:     hidden_global_offset_y
      - .offset:         72
        .size:           8
        .value_kind:     hidden_global_offset_z
      - .offset:         80
        .size:           2
        .value_kind:     hidden_grid_dims
    .group_segment_fixed_size: 0
    .kernarg_segment_align: 8
    .kernarg_segment_size: 272
    .language:       OpenCL C
    .language_version:
      - 2
      - 0
    .max_flat_workgroup_size: 64
    .name:           _Z18warp_reduce_kernelIfLj64ELj100EENSt9enable_ifIXsr15benchmark_utilsE35device_test_enabled_for_warp_size_vIXT0_EEEvE4typeEPKT_PS3_
    .private_segment_fixed_size: 0
    .sgpr_count:     12
    .sgpr_spill_count: 0
    .symbol:         _Z18warp_reduce_kernelIfLj64ELj100EENSt9enable_ifIXsr15benchmark_utilsE35device_test_enabled_for_warp_size_vIXT0_EEEvE4typeEPKT_PS3_.kd
    .uniform_work_group_size: 1
    .uses_dynamic_stack: false
    .vgpr_count:     5
    .vgpr_spill_count: 0
    .wavefront_size: 64
  - .args:
      - .address_space:  global
        .offset:         0
        .size:           8
        .value_kind:     global_buffer
      - .address_space:  global
        .offset:         8
        .size:           8
        .value_kind:     global_buffer
      - .offset:         16
        .size:           4
        .value_kind:     hidden_block_count_x
      - .offset:         20
        .size:           4
        .value_kind:     hidden_block_count_y
      - .offset:         24
        .size:           4
        .value_kind:     hidden_block_count_z
      - .offset:         28
        .size:           2
        .value_kind:     hidden_group_size_x
      - .offset:         30
        .size:           2
        .value_kind:     hidden_group_size_y
      - .offset:         32
        .size:           2
        .value_kind:     hidden_group_size_z
      - .offset:         34
        .size:           2
        .value_kind:     hidden_remainder_x
      - .offset:         36
        .size:           2
        .value_kind:     hidden_remainder_y
      - .offset:         38
        .size:           2
        .value_kind:     hidden_remainder_z
      - .offset:         56
        .size:           8
        .value_kind:     hidden_global_offset_x
      - .offset:         64
        .size:           8
        .value_kind:     hidden_global_offset_y
      - .offset:         72
        .size:           8
        .value_kind:     hidden_global_offset_z
      - .offset:         80
        .size:           2
        .value_kind:     hidden_grid_dims
    .group_segment_fixed_size: 120
    .kernarg_segment_align: 8
    .kernarg_segment_size: 272
    .language:       OpenCL C
    .language_version:
      - 2
      - 0
    .max_flat_workgroup_size: 64
    .name:           _Z18warp_reduce_kernelIdLj15ELj100EENSt9enable_ifIXsr15benchmark_utilsE35device_test_enabled_for_warp_size_vIXT0_EEEvE4typeEPKT_PS3_
    .private_segment_fixed_size: 0
    .sgpr_count:     16
    .sgpr_spill_count: 0
    .symbol:         _Z18warp_reduce_kernelIdLj15ELj100EENSt9enable_ifIXsr15benchmark_utilsE35device_test_enabled_for_warp_size_vIXT0_EEEvE4typeEPKT_PS3_.kd
    .uniform_work_group_size: 1
    .uses_dynamic_stack: false
    .vgpr_count:     9
    .vgpr_spill_count: 0
    .wavefront_size: 64
  - .args:
      - .address_space:  global
        .offset:         0
        .size:           8
        .value_kind:     global_buffer
      - .address_space:  global
        .offset:         8
        .size:           8
        .value_kind:     global_buffer
      - .offset:         16
        .size:           4
        .value_kind:     hidden_block_count_x
      - .offset:         20
        .size:           4
        .value_kind:     hidden_block_count_y
      - .offset:         24
        .size:           4
        .value_kind:     hidden_block_count_z
      - .offset:         28
        .size:           2
        .value_kind:     hidden_group_size_x
      - .offset:         30
        .size:           2
        .value_kind:     hidden_group_size_y
      - .offset:         32
        .size:           2
        .value_kind:     hidden_group_size_z
      - .offset:         34
        .size:           2
        .value_kind:     hidden_remainder_x
      - .offset:         36
        .size:           2
        .value_kind:     hidden_remainder_y
      - .offset:         38
        .size:           2
        .value_kind:     hidden_remainder_z
      - .offset:         56
        .size:           8
        .value_kind:     hidden_global_offset_x
      - .offset:         64
        .size:           8
        .value_kind:     hidden_global_offset_y
      - .offset:         72
        .size:           8
        .value_kind:     hidden_global_offset_z
      - .offset:         80
        .size:           2
        .value_kind:     hidden_grid_dims
    .group_segment_fixed_size: 0
    .kernarg_segment_align: 8
    .kernarg_segment_size: 272
    .language:       OpenCL C
    .language_version:
      - 2
      - 0
    .max_flat_workgroup_size: 64
    .name:           _Z18warp_reduce_kernelIdLj16ELj100EENSt9enable_ifIXsr15benchmark_utilsE35device_test_enabled_for_warp_size_vIXT0_EEEvE4typeEPKT_PS3_
    .private_segment_fixed_size: 0
    .sgpr_count:     12
    .sgpr_spill_count: 0
    .symbol:         _Z18warp_reduce_kernelIdLj16ELj100EENSt9enable_ifIXsr15benchmark_utilsE35device_test_enabled_for_warp_size_vIXT0_EEEvE4typeEPKT_PS3_.kd
    .uniform_work_group_size: 1
    .uses_dynamic_stack: false
    .vgpr_count:     10
    .vgpr_spill_count: 0
    .wavefront_size: 64
  - .args:
      - .address_space:  global
        .offset:         0
        .size:           8
        .value_kind:     global_buffer
      - .address_space:  global
        .offset:         8
        .size:           8
        .value_kind:     global_buffer
      - .offset:         16
        .size:           4
        .value_kind:     hidden_block_count_x
      - .offset:         20
        .size:           4
        .value_kind:     hidden_block_count_y
      - .offset:         24
        .size:           4
        .value_kind:     hidden_block_count_z
      - .offset:         28
        .size:           2
        .value_kind:     hidden_group_size_x
      - .offset:         30
        .size:           2
        .value_kind:     hidden_group_size_y
      - .offset:         32
        .size:           2
        .value_kind:     hidden_group_size_z
      - .offset:         34
        .size:           2
        .value_kind:     hidden_remainder_x
      - .offset:         36
        .size:           2
        .value_kind:     hidden_remainder_y
      - .offset:         38
        .size:           2
        .value_kind:     hidden_remainder_z
      - .offset:         56
        .size:           8
        .value_kind:     hidden_global_offset_x
      - .offset:         64
        .size:           8
        .value_kind:     hidden_global_offset_y
      - .offset:         72
        .size:           8
        .value_kind:     hidden_global_offset_z
      - .offset:         80
        .size:           2
        .value_kind:     hidden_grid_dims
    .group_segment_fixed_size: 248
    .kernarg_segment_align: 8
    .kernarg_segment_size: 272
    .language:       OpenCL C
    .language_version:
      - 2
      - 0
    .max_flat_workgroup_size: 64
    .name:           _Z18warp_reduce_kernelIdLj31ELj100EENSt9enable_ifIXsr15benchmark_utilsE35device_test_enabled_for_warp_size_vIXT0_EEEvE4typeEPKT_PS3_
    .private_segment_fixed_size: 0
    .sgpr_count:     17
    .sgpr_spill_count: 0
    .symbol:         _Z18warp_reduce_kernelIdLj31ELj100EENSt9enable_ifIXsr15benchmark_utilsE35device_test_enabled_for_warp_size_vIXT0_EEEvE4typeEPKT_PS3_.kd
    .uniform_work_group_size: 1
    .uses_dynamic_stack: false
    .vgpr_count:     9
    .vgpr_spill_count: 0
    .wavefront_size: 64
  - .args:
      - .address_space:  global
        .offset:         0
        .size:           8
        .value_kind:     global_buffer
      - .address_space:  global
        .offset:         8
        .size:           8
        .value_kind:     global_buffer
      - .offset:         16
        .size:           4
        .value_kind:     hidden_block_count_x
      - .offset:         20
        .size:           4
        .value_kind:     hidden_block_count_y
      - .offset:         24
        .size:           4
        .value_kind:     hidden_block_count_z
      - .offset:         28
        .size:           2
        .value_kind:     hidden_group_size_x
      - .offset:         30
        .size:           2
        .value_kind:     hidden_group_size_y
      - .offset:         32
        .size:           2
        .value_kind:     hidden_group_size_z
      - .offset:         34
        .size:           2
        .value_kind:     hidden_remainder_x
      - .offset:         36
        .size:           2
        .value_kind:     hidden_remainder_y
      - .offset:         38
        .size:           2
        .value_kind:     hidden_remainder_z
      - .offset:         56
        .size:           8
        .value_kind:     hidden_global_offset_x
      - .offset:         64
        .size:           8
        .value_kind:     hidden_global_offset_y
      - .offset:         72
        .size:           8
        .value_kind:     hidden_global_offset_z
      - .offset:         80
        .size:           2
        .value_kind:     hidden_grid_dims
    .group_segment_fixed_size: 0
    .kernarg_segment_align: 8
    .kernarg_segment_size: 272
    .language:       OpenCL C
    .language_version:
      - 2
      - 0
    .max_flat_workgroup_size: 64
    .name:           _Z18warp_reduce_kernelIdLj32ELj100EENSt9enable_ifIXsr15benchmark_utilsE35device_test_enabled_for_warp_size_vIXT0_EEEvE4typeEPKT_PS3_
    .private_segment_fixed_size: 0
    .sgpr_count:     12
    .sgpr_spill_count: 0
    .symbol:         _Z18warp_reduce_kernelIdLj32ELj100EENSt9enable_ifIXsr15benchmark_utilsE35device_test_enabled_for_warp_size_vIXT0_EEEvE4typeEPKT_PS3_.kd
    .uniform_work_group_size: 1
    .uses_dynamic_stack: false
    .vgpr_count:     11
    .vgpr_spill_count: 0
    .wavefront_size: 64
  - .args:
      - .address_space:  global
        .offset:         0
        .size:           8
        .value_kind:     global_buffer
      - .address_space:  global
        .offset:         8
        .size:           8
        .value_kind:     global_buffer
      - .offset:         16
        .size:           4
        .value_kind:     hidden_block_count_x
      - .offset:         20
        .size:           4
        .value_kind:     hidden_block_count_y
      - .offset:         24
        .size:           4
        .value_kind:     hidden_block_count_z
      - .offset:         28
        .size:           2
        .value_kind:     hidden_group_size_x
      - .offset:         30
        .size:           2
        .value_kind:     hidden_group_size_y
      - .offset:         32
        .size:           2
        .value_kind:     hidden_group_size_z
      - .offset:         34
        .size:           2
        .value_kind:     hidden_remainder_x
      - .offset:         36
        .size:           2
        .value_kind:     hidden_remainder_y
      - .offset:         38
        .size:           2
        .value_kind:     hidden_remainder_z
      - .offset:         56
        .size:           8
        .value_kind:     hidden_global_offset_x
      - .offset:         64
        .size:           8
        .value_kind:     hidden_global_offset_y
      - .offset:         72
        .size:           8
        .value_kind:     hidden_global_offset_z
      - .offset:         80
        .size:           2
        .value_kind:     hidden_grid_dims
    .group_segment_fixed_size: 296
    .kernarg_segment_align: 8
    .kernarg_segment_size: 272
    .language:       OpenCL C
    .language_version:
      - 2
      - 0
    .max_flat_workgroup_size: 64
    .name:           _Z18warp_reduce_kernelIdLj37ELj100EENSt9enable_ifIXsr15benchmark_utilsE35device_test_enabled_for_warp_size_vIXT0_EEEvE4typeEPKT_PS3_
    .private_segment_fixed_size: 0
    .sgpr_count:     19
    .sgpr_spill_count: 0
    .symbol:         _Z18warp_reduce_kernelIdLj37ELj100EENSt9enable_ifIXsr15benchmark_utilsE35device_test_enabled_for_warp_size_vIXT0_EEEvE4typeEPKT_PS3_.kd
    .uniform_work_group_size: 1
    .uses_dynamic_stack: false
    .vgpr_count:     9
    .vgpr_spill_count: 0
    .wavefront_size: 64
  - .args:
      - .address_space:  global
        .offset:         0
        .size:           8
        .value_kind:     global_buffer
      - .address_space:  global
        .offset:         8
        .size:           8
        .value_kind:     global_buffer
      - .offset:         16
        .size:           4
        .value_kind:     hidden_block_count_x
      - .offset:         20
        .size:           4
        .value_kind:     hidden_block_count_y
      - .offset:         24
        .size:           4
        .value_kind:     hidden_block_count_z
      - .offset:         28
        .size:           2
        .value_kind:     hidden_group_size_x
      - .offset:         30
        .size:           2
        .value_kind:     hidden_group_size_y
      - .offset:         32
        .size:           2
        .value_kind:     hidden_group_size_z
      - .offset:         34
        .size:           2
        .value_kind:     hidden_remainder_x
      - .offset:         36
        .size:           2
        .value_kind:     hidden_remainder_y
      - .offset:         38
        .size:           2
        .value_kind:     hidden_remainder_z
      - .offset:         56
        .size:           8
        .value_kind:     hidden_global_offset_x
      - .offset:         64
        .size:           8
        .value_kind:     hidden_global_offset_y
      - .offset:         72
        .size:           8
        .value_kind:     hidden_global_offset_z
      - .offset:         80
        .size:           2
        .value_kind:     hidden_grid_dims
    .group_segment_fixed_size: 488
    .kernarg_segment_align: 8
    .kernarg_segment_size: 272
    .language:       OpenCL C
    .language_version:
      - 2
      - 0
    .max_flat_workgroup_size: 64
    .name:           _Z18warp_reduce_kernelIdLj61ELj100EENSt9enable_ifIXsr15benchmark_utilsE35device_test_enabled_for_warp_size_vIXT0_EEEvE4typeEPKT_PS3_
    .private_segment_fixed_size: 0
    .sgpr_count:     19
    .sgpr_spill_count: 0
    .symbol:         _Z18warp_reduce_kernelIdLj61ELj100EENSt9enable_ifIXsr15benchmark_utilsE35device_test_enabled_for_warp_size_vIXT0_EEEvE4typeEPKT_PS3_.kd
    .uniform_work_group_size: 1
    .uses_dynamic_stack: false
    .vgpr_count:     9
    .vgpr_spill_count: 0
    .wavefront_size: 64
  - .args:
      - .address_space:  global
        .offset:         0
        .size:           8
        .value_kind:     global_buffer
      - .address_space:  global
        .offset:         8
        .size:           8
        .value_kind:     global_buffer
      - .offset:         16
        .size:           4
        .value_kind:     hidden_block_count_x
      - .offset:         20
        .size:           4
        .value_kind:     hidden_block_count_y
      - .offset:         24
        .size:           4
        .value_kind:     hidden_block_count_z
      - .offset:         28
        .size:           2
        .value_kind:     hidden_group_size_x
      - .offset:         30
        .size:           2
        .value_kind:     hidden_group_size_y
      - .offset:         32
        .size:           2
        .value_kind:     hidden_group_size_z
      - .offset:         34
        .size:           2
        .value_kind:     hidden_remainder_x
      - .offset:         36
        .size:           2
        .value_kind:     hidden_remainder_y
      - .offset:         38
        .size:           2
        .value_kind:     hidden_remainder_z
      - .offset:         56
        .size:           8
        .value_kind:     hidden_global_offset_x
      - .offset:         64
        .size:           8
        .value_kind:     hidden_global_offset_y
      - .offset:         72
        .size:           8
        .value_kind:     hidden_global_offset_z
      - .offset:         80
        .size:           2
        .value_kind:     hidden_grid_dims
    .group_segment_fixed_size: 0
    .kernarg_segment_align: 8
    .kernarg_segment_size: 272
    .language:       OpenCL C
    .language_version:
      - 2
      - 0
    .max_flat_workgroup_size: 64
    .name:           _Z18warp_reduce_kernelIdLj64ELj100EENSt9enable_ifIXsr15benchmark_utilsE35device_test_enabled_for_warp_size_vIXT0_EEEvE4typeEPKT_PS3_
    .private_segment_fixed_size: 0
    .sgpr_count:     12
    .sgpr_spill_count: 0
    .symbol:         _Z18warp_reduce_kernelIdLj64ELj100EENSt9enable_ifIXsr15benchmark_utilsE35device_test_enabled_for_warp_size_vIXT0_EEEvE4typeEPKT_PS3_.kd
    .uniform_work_group_size: 1
    .uses_dynamic_stack: false
    .vgpr_count:     7
    .vgpr_spill_count: 0
    .wavefront_size: 64
  - .args:
      - .address_space:  global
        .offset:         0
        .size:           8
        .value_kind:     global_buffer
      - .address_space:  global
        .offset:         8
        .size:           8
        .value_kind:     global_buffer
      - .offset:         16
        .size:           4
        .value_kind:     hidden_block_count_x
      - .offset:         20
        .size:           4
        .value_kind:     hidden_block_count_y
      - .offset:         24
        .size:           4
        .value_kind:     hidden_block_count_z
      - .offset:         28
        .size:           2
        .value_kind:     hidden_group_size_x
      - .offset:         30
        .size:           2
        .value_kind:     hidden_group_size_y
      - .offset:         32
        .size:           2
        .value_kind:     hidden_group_size_z
      - .offset:         34
        .size:           2
        .value_kind:     hidden_remainder_x
      - .offset:         36
        .size:           2
        .value_kind:     hidden_remainder_y
      - .offset:         38
        .size:           2
        .value_kind:     hidden_remainder_z
      - .offset:         56
        .size:           8
        .value_kind:     hidden_global_offset_x
      - .offset:         64
        .size:           8
        .value_kind:     hidden_global_offset_y
      - .offset:         72
        .size:           8
        .value_kind:     hidden_global_offset_z
      - .offset:         80
        .size:           2
        .value_kind:     hidden_grid_dims
    .group_segment_fixed_size: 15
    .kernarg_segment_align: 8
    .kernarg_segment_size: 272
    .language:       OpenCL C
    .language_version:
      - 2
      - 0
    .max_flat_workgroup_size: 64
    .name:           _Z18warp_reduce_kernelIaLj15ELj100EENSt9enable_ifIXsr15benchmark_utilsE35device_test_enabled_for_warp_size_vIXT0_EEEvE4typeEPKT_PS3_
    .private_segment_fixed_size: 0
    .sgpr_count:     16
    .sgpr_spill_count: 0
    .symbol:         _Z18warp_reduce_kernelIaLj15ELj100EENSt9enable_ifIXsr15benchmark_utilsE35device_test_enabled_for_warp_size_vIXT0_EEEvE4typeEPKT_PS3_.kd
    .uniform_work_group_size: 1
    .uses_dynamic_stack: false
    .vgpr_count:     4
    .vgpr_spill_count: 0
    .wavefront_size: 64
  - .args:
      - .address_space:  global
        .offset:         0
        .size:           8
        .value_kind:     global_buffer
      - .address_space:  global
        .offset:         8
        .size:           8
        .value_kind:     global_buffer
      - .offset:         16
        .size:           4
        .value_kind:     hidden_block_count_x
      - .offset:         20
        .size:           4
        .value_kind:     hidden_block_count_y
      - .offset:         24
        .size:           4
        .value_kind:     hidden_block_count_z
      - .offset:         28
        .size:           2
        .value_kind:     hidden_group_size_x
      - .offset:         30
        .size:           2
        .value_kind:     hidden_group_size_y
      - .offset:         32
        .size:           2
        .value_kind:     hidden_group_size_z
      - .offset:         34
        .size:           2
        .value_kind:     hidden_remainder_x
      - .offset:         36
        .size:           2
        .value_kind:     hidden_remainder_y
      - .offset:         38
        .size:           2
        .value_kind:     hidden_remainder_z
      - .offset:         56
        .size:           8
        .value_kind:     hidden_global_offset_x
      - .offset:         64
        .size:           8
        .value_kind:     hidden_global_offset_y
      - .offset:         72
        .size:           8
        .value_kind:     hidden_global_offset_z
      - .offset:         80
        .size:           2
        .value_kind:     hidden_grid_dims
    .group_segment_fixed_size: 0
    .kernarg_segment_align: 8
    .kernarg_segment_size: 272
    .language:       OpenCL C
    .language_version:
      - 2
      - 0
    .max_flat_workgroup_size: 64
    .name:           _Z18warp_reduce_kernelIaLj16ELj100EENSt9enable_ifIXsr15benchmark_utilsE35device_test_enabled_for_warp_size_vIXT0_EEEvE4typeEPKT_PS3_
    .private_segment_fixed_size: 0
    .sgpr_count:     12
    .sgpr_spill_count: 0
    .symbol:         _Z18warp_reduce_kernelIaLj16ELj100EENSt9enable_ifIXsr15benchmark_utilsE35device_test_enabled_for_warp_size_vIXT0_EEEvE4typeEPKT_PS3_.kd
    .uniform_work_group_size: 1
    .uses_dynamic_stack: false
    .vgpr_count:     7
    .vgpr_spill_count: 0
    .wavefront_size: 64
  - .args:
      - .address_space:  global
        .offset:         0
        .size:           8
        .value_kind:     global_buffer
      - .address_space:  global
        .offset:         8
        .size:           8
        .value_kind:     global_buffer
      - .offset:         16
        .size:           4
        .value_kind:     hidden_block_count_x
      - .offset:         20
        .size:           4
        .value_kind:     hidden_block_count_y
      - .offset:         24
        .size:           4
        .value_kind:     hidden_block_count_z
      - .offset:         28
        .size:           2
        .value_kind:     hidden_group_size_x
      - .offset:         30
        .size:           2
        .value_kind:     hidden_group_size_y
      - .offset:         32
        .size:           2
        .value_kind:     hidden_group_size_z
      - .offset:         34
        .size:           2
        .value_kind:     hidden_remainder_x
      - .offset:         36
        .size:           2
        .value_kind:     hidden_remainder_y
      - .offset:         38
        .size:           2
        .value_kind:     hidden_remainder_z
      - .offset:         56
        .size:           8
        .value_kind:     hidden_global_offset_x
      - .offset:         64
        .size:           8
        .value_kind:     hidden_global_offset_y
      - .offset:         72
        .size:           8
        .value_kind:     hidden_global_offset_z
      - .offset:         80
        .size:           2
        .value_kind:     hidden_grid_dims
    .group_segment_fixed_size: 31
    .kernarg_segment_align: 8
    .kernarg_segment_size: 272
    .language:       OpenCL C
    .language_version:
      - 2
      - 0
    .max_flat_workgroup_size: 64
    .name:           _Z18warp_reduce_kernelIaLj31ELj100EENSt9enable_ifIXsr15benchmark_utilsE35device_test_enabled_for_warp_size_vIXT0_EEEvE4typeEPKT_PS3_
    .private_segment_fixed_size: 0
    .sgpr_count:     17
    .sgpr_spill_count: 0
    .symbol:         _Z18warp_reduce_kernelIaLj31ELj100EENSt9enable_ifIXsr15benchmark_utilsE35device_test_enabled_for_warp_size_vIXT0_EEEvE4typeEPKT_PS3_.kd
    .uniform_work_group_size: 1
    .uses_dynamic_stack: false
    .vgpr_count:     4
    .vgpr_spill_count: 0
    .wavefront_size: 64
  - .args:
      - .address_space:  global
        .offset:         0
        .size:           8
        .value_kind:     global_buffer
      - .address_space:  global
        .offset:         8
        .size:           8
        .value_kind:     global_buffer
      - .offset:         16
        .size:           4
        .value_kind:     hidden_block_count_x
      - .offset:         20
        .size:           4
        .value_kind:     hidden_block_count_y
      - .offset:         24
        .size:           4
        .value_kind:     hidden_block_count_z
      - .offset:         28
        .size:           2
        .value_kind:     hidden_group_size_x
      - .offset:         30
        .size:           2
        .value_kind:     hidden_group_size_y
      - .offset:         32
        .size:           2
        .value_kind:     hidden_group_size_z
      - .offset:         34
        .size:           2
        .value_kind:     hidden_remainder_x
      - .offset:         36
        .size:           2
        .value_kind:     hidden_remainder_y
      - .offset:         38
        .size:           2
        .value_kind:     hidden_remainder_z
      - .offset:         56
        .size:           8
        .value_kind:     hidden_global_offset_x
      - .offset:         64
        .size:           8
        .value_kind:     hidden_global_offset_y
      - .offset:         72
        .size:           8
        .value_kind:     hidden_global_offset_z
      - .offset:         80
        .size:           2
        .value_kind:     hidden_grid_dims
    .group_segment_fixed_size: 0
    .kernarg_segment_align: 8
    .kernarg_segment_size: 272
    .language:       OpenCL C
    .language_version:
      - 2
      - 0
    .max_flat_workgroup_size: 64
    .name:           _Z18warp_reduce_kernelIaLj32ELj100EENSt9enable_ifIXsr15benchmark_utilsE35device_test_enabled_for_warp_size_vIXT0_EEEvE4typeEPKT_PS3_
    .private_segment_fixed_size: 0
    .sgpr_count:     12
    .sgpr_spill_count: 0
    .symbol:         _Z18warp_reduce_kernelIaLj32ELj100EENSt9enable_ifIXsr15benchmark_utilsE35device_test_enabled_for_warp_size_vIXT0_EEEvE4typeEPKT_PS3_.kd
    .uniform_work_group_size: 1
    .uses_dynamic_stack: false
    .vgpr_count:     8
    .vgpr_spill_count: 0
    .wavefront_size: 64
  - .args:
      - .address_space:  global
        .offset:         0
        .size:           8
        .value_kind:     global_buffer
      - .address_space:  global
        .offset:         8
        .size:           8
        .value_kind:     global_buffer
      - .offset:         16
        .size:           4
        .value_kind:     hidden_block_count_x
      - .offset:         20
        .size:           4
        .value_kind:     hidden_block_count_y
      - .offset:         24
        .size:           4
        .value_kind:     hidden_block_count_z
      - .offset:         28
        .size:           2
        .value_kind:     hidden_group_size_x
      - .offset:         30
        .size:           2
        .value_kind:     hidden_group_size_y
      - .offset:         32
        .size:           2
        .value_kind:     hidden_group_size_z
      - .offset:         34
        .size:           2
        .value_kind:     hidden_remainder_x
      - .offset:         36
        .size:           2
        .value_kind:     hidden_remainder_y
      - .offset:         38
        .size:           2
        .value_kind:     hidden_remainder_z
      - .offset:         56
        .size:           8
        .value_kind:     hidden_global_offset_x
      - .offset:         64
        .size:           8
        .value_kind:     hidden_global_offset_y
      - .offset:         72
        .size:           8
        .value_kind:     hidden_global_offset_z
      - .offset:         80
        .size:           2
        .value_kind:     hidden_grid_dims
    .group_segment_fixed_size: 37
    .kernarg_segment_align: 8
    .kernarg_segment_size: 272
    .language:       OpenCL C
    .language_version:
      - 2
      - 0
    .max_flat_workgroup_size: 64
    .name:           _Z18warp_reduce_kernelIaLj37ELj100EENSt9enable_ifIXsr15benchmark_utilsE35device_test_enabled_for_warp_size_vIXT0_EEEvE4typeEPKT_PS3_
    .private_segment_fixed_size: 0
    .sgpr_count:     19
    .sgpr_spill_count: 0
    .symbol:         _Z18warp_reduce_kernelIaLj37ELj100EENSt9enable_ifIXsr15benchmark_utilsE35device_test_enabled_for_warp_size_vIXT0_EEEvE4typeEPKT_PS3_.kd
    .uniform_work_group_size: 1
    .uses_dynamic_stack: false
    .vgpr_count:     4
    .vgpr_spill_count: 0
    .wavefront_size: 64
  - .args:
      - .address_space:  global
        .offset:         0
        .size:           8
        .value_kind:     global_buffer
      - .address_space:  global
        .offset:         8
        .size:           8
        .value_kind:     global_buffer
      - .offset:         16
        .size:           4
        .value_kind:     hidden_block_count_x
      - .offset:         20
        .size:           4
        .value_kind:     hidden_block_count_y
      - .offset:         24
        .size:           4
        .value_kind:     hidden_block_count_z
      - .offset:         28
        .size:           2
        .value_kind:     hidden_group_size_x
      - .offset:         30
        .size:           2
        .value_kind:     hidden_group_size_y
      - .offset:         32
        .size:           2
        .value_kind:     hidden_group_size_z
      - .offset:         34
        .size:           2
        .value_kind:     hidden_remainder_x
      - .offset:         36
        .size:           2
        .value_kind:     hidden_remainder_y
      - .offset:         38
        .size:           2
        .value_kind:     hidden_remainder_z
      - .offset:         56
        .size:           8
        .value_kind:     hidden_global_offset_x
      - .offset:         64
        .size:           8
        .value_kind:     hidden_global_offset_y
      - .offset:         72
        .size:           8
        .value_kind:     hidden_global_offset_z
      - .offset:         80
        .size:           2
        .value_kind:     hidden_grid_dims
    .group_segment_fixed_size: 61
    .kernarg_segment_align: 8
    .kernarg_segment_size: 272
    .language:       OpenCL C
    .language_version:
      - 2
      - 0
    .max_flat_workgroup_size: 64
    .name:           _Z18warp_reduce_kernelIaLj61ELj100EENSt9enable_ifIXsr15benchmark_utilsE35device_test_enabled_for_warp_size_vIXT0_EEEvE4typeEPKT_PS3_
    .private_segment_fixed_size: 0
    .sgpr_count:     19
    .sgpr_spill_count: 0
    .symbol:         _Z18warp_reduce_kernelIaLj61ELj100EENSt9enable_ifIXsr15benchmark_utilsE35device_test_enabled_for_warp_size_vIXT0_EEEvE4typeEPKT_PS3_.kd
    .uniform_work_group_size: 1
    .uses_dynamic_stack: false
    .vgpr_count:     4
    .vgpr_spill_count: 0
    .wavefront_size: 64
  - .args:
      - .address_space:  global
        .offset:         0
        .size:           8
        .value_kind:     global_buffer
      - .address_space:  global
        .offset:         8
        .size:           8
        .value_kind:     global_buffer
      - .offset:         16
        .size:           4
        .value_kind:     hidden_block_count_x
      - .offset:         20
        .size:           4
        .value_kind:     hidden_block_count_y
      - .offset:         24
        .size:           4
        .value_kind:     hidden_block_count_z
      - .offset:         28
        .size:           2
        .value_kind:     hidden_group_size_x
      - .offset:         30
        .size:           2
        .value_kind:     hidden_group_size_y
      - .offset:         32
        .size:           2
        .value_kind:     hidden_group_size_z
      - .offset:         34
        .size:           2
        .value_kind:     hidden_remainder_x
      - .offset:         36
        .size:           2
        .value_kind:     hidden_remainder_y
      - .offset:         38
        .size:           2
        .value_kind:     hidden_remainder_z
      - .offset:         56
        .size:           8
        .value_kind:     hidden_global_offset_x
      - .offset:         64
        .size:           8
        .value_kind:     hidden_global_offset_y
      - .offset:         72
        .size:           8
        .value_kind:     hidden_global_offset_z
      - .offset:         80
        .size:           2
        .value_kind:     hidden_grid_dims
    .group_segment_fixed_size: 0
    .kernarg_segment_align: 8
    .kernarg_segment_size: 272
    .language:       OpenCL C
    .language_version:
      - 2
      - 0
    .max_flat_workgroup_size: 64
    .name:           _Z18warp_reduce_kernelIaLj64ELj100EENSt9enable_ifIXsr15benchmark_utilsE35device_test_enabled_for_warp_size_vIXT0_EEEvE4typeEPKT_PS3_
    .private_segment_fixed_size: 0
    .sgpr_count:     12
    .sgpr_spill_count: 0
    .symbol:         _Z18warp_reduce_kernelIaLj64ELj100EENSt9enable_ifIXsr15benchmark_utilsE35device_test_enabled_for_warp_size_vIXT0_EEEvE4typeEPKT_PS3_.kd
    .uniform_work_group_size: 1
    .uses_dynamic_stack: false
    .vgpr_count:     4
    .vgpr_spill_count: 0
    .wavefront_size: 64
  - .args:
      - .address_space:  global
        .offset:         0
        .size:           8
        .value_kind:     global_buffer
      - .address_space:  global
        .offset:         8
        .size:           8
        .value_kind:     global_buffer
      - .offset:         16
        .size:           4
        .value_kind:     hidden_block_count_x
      - .offset:         20
        .size:           4
        .value_kind:     hidden_block_count_y
      - .offset:         24
        .size:           4
        .value_kind:     hidden_block_count_z
      - .offset:         28
        .size:           2
        .value_kind:     hidden_group_size_x
      - .offset:         30
        .size:           2
        .value_kind:     hidden_group_size_y
      - .offset:         32
        .size:           2
        .value_kind:     hidden_group_size_z
      - .offset:         34
        .size:           2
        .value_kind:     hidden_remainder_x
      - .offset:         36
        .size:           2
        .value_kind:     hidden_remainder_y
      - .offset:         38
        .size:           2
        .value_kind:     hidden_remainder_z
      - .offset:         56
        .size:           8
        .value_kind:     hidden_global_offset_x
      - .offset:         64
        .size:           8
        .value_kind:     hidden_global_offset_y
      - .offset:         72
        .size:           8
        .value_kind:     hidden_global_offset_z
      - .offset:         80
        .size:           2
        .value_kind:     hidden_grid_dims
    .group_segment_fixed_size: 15
    .kernarg_segment_align: 8
    .kernarg_segment_size: 272
    .language:       OpenCL C
    .language_version:
      - 2
      - 0
    .max_flat_workgroup_size: 64
    .name:           _Z18warp_reduce_kernelIhLj15ELj100EENSt9enable_ifIXsr15benchmark_utilsE35device_test_enabled_for_warp_size_vIXT0_EEEvE4typeEPKT_PS3_
    .private_segment_fixed_size: 0
    .sgpr_count:     16
    .sgpr_spill_count: 0
    .symbol:         _Z18warp_reduce_kernelIhLj15ELj100EENSt9enable_ifIXsr15benchmark_utilsE35device_test_enabled_for_warp_size_vIXT0_EEEvE4typeEPKT_PS3_.kd
    .uniform_work_group_size: 1
    .uses_dynamic_stack: false
    .vgpr_count:     4
    .vgpr_spill_count: 0
    .wavefront_size: 64
  - .args:
      - .address_space:  global
        .offset:         0
        .size:           8
        .value_kind:     global_buffer
      - .address_space:  global
        .offset:         8
        .size:           8
        .value_kind:     global_buffer
      - .offset:         16
        .size:           4
        .value_kind:     hidden_block_count_x
      - .offset:         20
        .size:           4
        .value_kind:     hidden_block_count_y
      - .offset:         24
        .size:           4
        .value_kind:     hidden_block_count_z
      - .offset:         28
        .size:           2
        .value_kind:     hidden_group_size_x
      - .offset:         30
        .size:           2
        .value_kind:     hidden_group_size_y
      - .offset:         32
        .size:           2
        .value_kind:     hidden_group_size_z
      - .offset:         34
        .size:           2
        .value_kind:     hidden_remainder_x
      - .offset:         36
        .size:           2
        .value_kind:     hidden_remainder_y
      - .offset:         38
        .size:           2
        .value_kind:     hidden_remainder_z
      - .offset:         56
        .size:           8
        .value_kind:     hidden_global_offset_x
      - .offset:         64
        .size:           8
        .value_kind:     hidden_global_offset_y
      - .offset:         72
        .size:           8
        .value_kind:     hidden_global_offset_z
      - .offset:         80
        .size:           2
        .value_kind:     hidden_grid_dims
    .group_segment_fixed_size: 0
    .kernarg_segment_align: 8
    .kernarg_segment_size: 272
    .language:       OpenCL C
    .language_version:
      - 2
      - 0
    .max_flat_workgroup_size: 64
    .name:           _Z18warp_reduce_kernelIhLj16ELj100EENSt9enable_ifIXsr15benchmark_utilsE35device_test_enabled_for_warp_size_vIXT0_EEEvE4typeEPKT_PS3_
    .private_segment_fixed_size: 0
    .sgpr_count:     12
    .sgpr_spill_count: 0
    .symbol:         _Z18warp_reduce_kernelIhLj16ELj100EENSt9enable_ifIXsr15benchmark_utilsE35device_test_enabled_for_warp_size_vIXT0_EEEvE4typeEPKT_PS3_.kd
    .uniform_work_group_size: 1
    .uses_dynamic_stack: false
    .vgpr_count:     7
    .vgpr_spill_count: 0
    .wavefront_size: 64
  - .args:
      - .address_space:  global
        .offset:         0
        .size:           8
        .value_kind:     global_buffer
      - .address_space:  global
        .offset:         8
        .size:           8
        .value_kind:     global_buffer
      - .offset:         16
        .size:           4
        .value_kind:     hidden_block_count_x
      - .offset:         20
        .size:           4
        .value_kind:     hidden_block_count_y
      - .offset:         24
        .size:           4
        .value_kind:     hidden_block_count_z
      - .offset:         28
        .size:           2
        .value_kind:     hidden_group_size_x
      - .offset:         30
        .size:           2
        .value_kind:     hidden_group_size_y
      - .offset:         32
        .size:           2
        .value_kind:     hidden_group_size_z
      - .offset:         34
        .size:           2
        .value_kind:     hidden_remainder_x
      - .offset:         36
        .size:           2
        .value_kind:     hidden_remainder_y
      - .offset:         38
        .size:           2
        .value_kind:     hidden_remainder_z
      - .offset:         56
        .size:           8
        .value_kind:     hidden_global_offset_x
      - .offset:         64
        .size:           8
        .value_kind:     hidden_global_offset_y
      - .offset:         72
        .size:           8
        .value_kind:     hidden_global_offset_z
      - .offset:         80
        .size:           2
        .value_kind:     hidden_grid_dims
    .group_segment_fixed_size: 31
    .kernarg_segment_align: 8
    .kernarg_segment_size: 272
    .language:       OpenCL C
    .language_version:
      - 2
      - 0
    .max_flat_workgroup_size: 64
    .name:           _Z18warp_reduce_kernelIhLj31ELj100EENSt9enable_ifIXsr15benchmark_utilsE35device_test_enabled_for_warp_size_vIXT0_EEEvE4typeEPKT_PS3_
    .private_segment_fixed_size: 0
    .sgpr_count:     17
    .sgpr_spill_count: 0
    .symbol:         _Z18warp_reduce_kernelIhLj31ELj100EENSt9enable_ifIXsr15benchmark_utilsE35device_test_enabled_for_warp_size_vIXT0_EEEvE4typeEPKT_PS3_.kd
    .uniform_work_group_size: 1
    .uses_dynamic_stack: false
    .vgpr_count:     4
    .vgpr_spill_count: 0
    .wavefront_size: 64
  - .args:
      - .address_space:  global
        .offset:         0
        .size:           8
        .value_kind:     global_buffer
      - .address_space:  global
        .offset:         8
        .size:           8
        .value_kind:     global_buffer
      - .offset:         16
        .size:           4
        .value_kind:     hidden_block_count_x
      - .offset:         20
        .size:           4
        .value_kind:     hidden_block_count_y
      - .offset:         24
        .size:           4
        .value_kind:     hidden_block_count_z
      - .offset:         28
        .size:           2
        .value_kind:     hidden_group_size_x
      - .offset:         30
        .size:           2
        .value_kind:     hidden_group_size_y
      - .offset:         32
        .size:           2
        .value_kind:     hidden_group_size_z
      - .offset:         34
        .size:           2
        .value_kind:     hidden_remainder_x
      - .offset:         36
        .size:           2
        .value_kind:     hidden_remainder_y
      - .offset:         38
        .size:           2
        .value_kind:     hidden_remainder_z
      - .offset:         56
        .size:           8
        .value_kind:     hidden_global_offset_x
      - .offset:         64
        .size:           8
        .value_kind:     hidden_global_offset_y
      - .offset:         72
        .size:           8
        .value_kind:     hidden_global_offset_z
      - .offset:         80
        .size:           2
        .value_kind:     hidden_grid_dims
    .group_segment_fixed_size: 0
    .kernarg_segment_align: 8
    .kernarg_segment_size: 272
    .language:       OpenCL C
    .language_version:
      - 2
      - 0
    .max_flat_workgroup_size: 64
    .name:           _Z18warp_reduce_kernelIhLj32ELj100EENSt9enable_ifIXsr15benchmark_utilsE35device_test_enabled_for_warp_size_vIXT0_EEEvE4typeEPKT_PS3_
    .private_segment_fixed_size: 0
    .sgpr_count:     12
    .sgpr_spill_count: 0
    .symbol:         _Z18warp_reduce_kernelIhLj32ELj100EENSt9enable_ifIXsr15benchmark_utilsE35device_test_enabled_for_warp_size_vIXT0_EEEvE4typeEPKT_PS3_.kd
    .uniform_work_group_size: 1
    .uses_dynamic_stack: false
    .vgpr_count:     8
    .vgpr_spill_count: 0
    .wavefront_size: 64
  - .args:
      - .address_space:  global
        .offset:         0
        .size:           8
        .value_kind:     global_buffer
      - .address_space:  global
        .offset:         8
        .size:           8
        .value_kind:     global_buffer
      - .offset:         16
        .size:           4
        .value_kind:     hidden_block_count_x
      - .offset:         20
        .size:           4
        .value_kind:     hidden_block_count_y
      - .offset:         24
        .size:           4
        .value_kind:     hidden_block_count_z
      - .offset:         28
        .size:           2
        .value_kind:     hidden_group_size_x
      - .offset:         30
        .size:           2
        .value_kind:     hidden_group_size_y
      - .offset:         32
        .size:           2
        .value_kind:     hidden_group_size_z
      - .offset:         34
        .size:           2
        .value_kind:     hidden_remainder_x
      - .offset:         36
        .size:           2
        .value_kind:     hidden_remainder_y
      - .offset:         38
        .size:           2
        .value_kind:     hidden_remainder_z
      - .offset:         56
        .size:           8
        .value_kind:     hidden_global_offset_x
      - .offset:         64
        .size:           8
        .value_kind:     hidden_global_offset_y
      - .offset:         72
        .size:           8
        .value_kind:     hidden_global_offset_z
      - .offset:         80
        .size:           2
        .value_kind:     hidden_grid_dims
    .group_segment_fixed_size: 37
    .kernarg_segment_align: 8
    .kernarg_segment_size: 272
    .language:       OpenCL C
    .language_version:
      - 2
      - 0
    .max_flat_workgroup_size: 64
    .name:           _Z18warp_reduce_kernelIhLj37ELj100EENSt9enable_ifIXsr15benchmark_utilsE35device_test_enabled_for_warp_size_vIXT0_EEEvE4typeEPKT_PS3_
    .private_segment_fixed_size: 0
    .sgpr_count:     19
    .sgpr_spill_count: 0
    .symbol:         _Z18warp_reduce_kernelIhLj37ELj100EENSt9enable_ifIXsr15benchmark_utilsE35device_test_enabled_for_warp_size_vIXT0_EEEvE4typeEPKT_PS3_.kd
    .uniform_work_group_size: 1
    .uses_dynamic_stack: false
    .vgpr_count:     4
    .vgpr_spill_count: 0
    .wavefront_size: 64
  - .args:
      - .address_space:  global
        .offset:         0
        .size:           8
        .value_kind:     global_buffer
      - .address_space:  global
        .offset:         8
        .size:           8
        .value_kind:     global_buffer
      - .offset:         16
        .size:           4
        .value_kind:     hidden_block_count_x
      - .offset:         20
        .size:           4
        .value_kind:     hidden_block_count_y
      - .offset:         24
        .size:           4
        .value_kind:     hidden_block_count_z
      - .offset:         28
        .size:           2
        .value_kind:     hidden_group_size_x
      - .offset:         30
        .size:           2
        .value_kind:     hidden_group_size_y
      - .offset:         32
        .size:           2
        .value_kind:     hidden_group_size_z
      - .offset:         34
        .size:           2
        .value_kind:     hidden_remainder_x
      - .offset:         36
        .size:           2
        .value_kind:     hidden_remainder_y
      - .offset:         38
        .size:           2
        .value_kind:     hidden_remainder_z
      - .offset:         56
        .size:           8
        .value_kind:     hidden_global_offset_x
      - .offset:         64
        .size:           8
        .value_kind:     hidden_global_offset_y
      - .offset:         72
        .size:           8
        .value_kind:     hidden_global_offset_z
      - .offset:         80
        .size:           2
        .value_kind:     hidden_grid_dims
    .group_segment_fixed_size: 61
    .kernarg_segment_align: 8
    .kernarg_segment_size: 272
    .language:       OpenCL C
    .language_version:
      - 2
      - 0
    .max_flat_workgroup_size: 64
    .name:           _Z18warp_reduce_kernelIhLj61ELj100EENSt9enable_ifIXsr15benchmark_utilsE35device_test_enabled_for_warp_size_vIXT0_EEEvE4typeEPKT_PS3_
    .private_segment_fixed_size: 0
    .sgpr_count:     19
    .sgpr_spill_count: 0
    .symbol:         _Z18warp_reduce_kernelIhLj61ELj100EENSt9enable_ifIXsr15benchmark_utilsE35device_test_enabled_for_warp_size_vIXT0_EEEvE4typeEPKT_PS3_.kd
    .uniform_work_group_size: 1
    .uses_dynamic_stack: false
    .vgpr_count:     4
    .vgpr_spill_count: 0
    .wavefront_size: 64
  - .args:
      - .address_space:  global
        .offset:         0
        .size:           8
        .value_kind:     global_buffer
      - .address_space:  global
        .offset:         8
        .size:           8
        .value_kind:     global_buffer
      - .offset:         16
        .size:           4
        .value_kind:     hidden_block_count_x
      - .offset:         20
        .size:           4
        .value_kind:     hidden_block_count_y
      - .offset:         24
        .size:           4
        .value_kind:     hidden_block_count_z
      - .offset:         28
        .size:           2
        .value_kind:     hidden_group_size_x
      - .offset:         30
        .size:           2
        .value_kind:     hidden_group_size_y
      - .offset:         32
        .size:           2
        .value_kind:     hidden_group_size_z
      - .offset:         34
        .size:           2
        .value_kind:     hidden_remainder_x
      - .offset:         36
        .size:           2
        .value_kind:     hidden_remainder_y
      - .offset:         38
        .size:           2
        .value_kind:     hidden_remainder_z
      - .offset:         56
        .size:           8
        .value_kind:     hidden_global_offset_x
      - .offset:         64
        .size:           8
        .value_kind:     hidden_global_offset_y
      - .offset:         72
        .size:           8
        .value_kind:     hidden_global_offset_z
      - .offset:         80
        .size:           2
        .value_kind:     hidden_grid_dims
    .group_segment_fixed_size: 0
    .kernarg_segment_align: 8
    .kernarg_segment_size: 272
    .language:       OpenCL C
    .language_version:
      - 2
      - 0
    .max_flat_workgroup_size: 64
    .name:           _Z18warp_reduce_kernelIhLj64ELj100EENSt9enable_ifIXsr15benchmark_utilsE35device_test_enabled_for_warp_size_vIXT0_EEEvE4typeEPKT_PS3_
    .private_segment_fixed_size: 0
    .sgpr_count:     12
    .sgpr_spill_count: 0
    .symbol:         _Z18warp_reduce_kernelIhLj64ELj100EENSt9enable_ifIXsr15benchmark_utilsE35device_test_enabled_for_warp_size_vIXT0_EEEvE4typeEPKT_PS3_.kd
    .uniform_work_group_size: 1
    .uses_dynamic_stack: false
    .vgpr_count:     4
    .vgpr_spill_count: 0
    .wavefront_size: 64
  - .args:
      - .address_space:  global
        .offset:         0
        .size:           8
        .value_kind:     global_buffer
      - .address_space:  global
        .offset:         8
        .size:           8
        .value_kind:     global_buffer
      - .address_space:  global
        .offset:         16
        .size:           8
        .value_kind:     global_buffer
      - .offset:         24
        .size:           4
        .value_kind:     hidden_block_count_x
      - .offset:         28
        .size:           4
        .value_kind:     hidden_block_count_y
      - .offset:         32
        .size:           4
        .value_kind:     hidden_block_count_z
      - .offset:         36
        .size:           2
        .value_kind:     hidden_group_size_x
      - .offset:         38
        .size:           2
        .value_kind:     hidden_group_size_y
      - .offset:         40
        .size:           2
        .value_kind:     hidden_group_size_z
      - .offset:         42
        .size:           2
        .value_kind:     hidden_remainder_x
      - .offset:         44
        .size:           2
        .value_kind:     hidden_remainder_y
      - .offset:         46
        .size:           2
        .value_kind:     hidden_remainder_z
      - .offset:         64
        .size:           8
        .value_kind:     hidden_global_offset_x
      - .offset:         72
        .size:           8
        .value_kind:     hidden_global_offset_y
      - .offset:         80
        .size:           8
        .value_kind:     hidden_global_offset_z
      - .offset:         88
        .size:           2
        .value_kind:     hidden_grid_dims
    .group_segment_fixed_size: 60
    .kernarg_segment_align: 8
    .kernarg_segment_size: 280
    .language:       OpenCL C
    .language_version:
      - 2
      - 0
    .max_flat_workgroup_size: 64
    .name:           _Z28segmented_warp_reduce_kernelIihLj15ELj100EENSt9enable_ifIXsr15benchmark_utilsE35device_test_enabled_for_warp_size_vIXT1_EEEvE4typeEPKT_PT0_PS3_
    .private_segment_fixed_size: 0
    .sgpr_count:     16
    .sgpr_spill_count: 0
    .symbol:         _Z28segmented_warp_reduce_kernelIihLj15ELj100EENSt9enable_ifIXsr15benchmark_utilsE35device_test_enabled_for_warp_size_vIXT1_EEEvE4typeEPKT_PT0_PS3_.kd
    .uniform_work_group_size: 1
    .uses_dynamic_stack: false
    .vgpr_count:     14
    .vgpr_spill_count: 0
    .wavefront_size: 64
  - .args:
      - .address_space:  global
        .offset:         0
        .size:           8
        .value_kind:     global_buffer
      - .address_space:  global
        .offset:         8
        .size:           8
        .value_kind:     global_buffer
      - .address_space:  global
        .offset:         16
        .size:           8
        .value_kind:     global_buffer
      - .offset:         24
        .size:           4
        .value_kind:     hidden_block_count_x
      - .offset:         28
        .size:           4
        .value_kind:     hidden_block_count_y
      - .offset:         32
        .size:           4
        .value_kind:     hidden_block_count_z
      - .offset:         36
        .size:           2
        .value_kind:     hidden_group_size_x
      - .offset:         38
        .size:           2
        .value_kind:     hidden_group_size_y
      - .offset:         40
        .size:           2
        .value_kind:     hidden_group_size_z
      - .offset:         42
        .size:           2
        .value_kind:     hidden_remainder_x
      - .offset:         44
        .size:           2
        .value_kind:     hidden_remainder_y
      - .offset:         46
        .size:           2
        .value_kind:     hidden_remainder_z
      - .offset:         64
        .size:           8
        .value_kind:     hidden_global_offset_x
      - .offset:         72
        .size:           8
        .value_kind:     hidden_global_offset_y
      - .offset:         80
        .size:           8
        .value_kind:     hidden_global_offset_z
      - .offset:         88
        .size:           2
        .value_kind:     hidden_grid_dims
    .group_segment_fixed_size: 0
    .kernarg_segment_align: 8
    .kernarg_segment_size: 280
    .language:       OpenCL C
    .language_version:
      - 2
      - 0
    .max_flat_workgroup_size: 64
    .name:           _Z28segmented_warp_reduce_kernelIihLj16ELj100EENSt9enable_ifIXsr15benchmark_utilsE35device_test_enabled_for_warp_size_vIXT1_EEEvE4typeEPKT_PT0_PS3_
    .private_segment_fixed_size: 0
    .sgpr_count:     16
    .sgpr_spill_count: 0
    .symbol:         _Z28segmented_warp_reduce_kernelIihLj16ELj100EENSt9enable_ifIXsr15benchmark_utilsE35device_test_enabled_for_warp_size_vIXT1_EEEvE4typeEPKT_PT0_PS3_.kd
    .uniform_work_group_size: 1
    .uses_dynamic_stack: false
    .vgpr_count:     16
    .vgpr_spill_count: 0
    .wavefront_size: 64
  - .args:
      - .address_space:  global
        .offset:         0
        .size:           8
        .value_kind:     global_buffer
      - .address_space:  global
        .offset:         8
        .size:           8
        .value_kind:     global_buffer
      - .address_space:  global
        .offset:         16
        .size:           8
        .value_kind:     global_buffer
      - .offset:         24
        .size:           4
        .value_kind:     hidden_block_count_x
      - .offset:         28
        .size:           4
        .value_kind:     hidden_block_count_y
      - .offset:         32
        .size:           4
        .value_kind:     hidden_block_count_z
      - .offset:         36
        .size:           2
        .value_kind:     hidden_group_size_x
      - .offset:         38
        .size:           2
        .value_kind:     hidden_group_size_y
      - .offset:         40
        .size:           2
        .value_kind:     hidden_group_size_z
      - .offset:         42
        .size:           2
        .value_kind:     hidden_remainder_x
      - .offset:         44
        .size:           2
        .value_kind:     hidden_remainder_y
      - .offset:         46
        .size:           2
        .value_kind:     hidden_remainder_z
      - .offset:         64
        .size:           8
        .value_kind:     hidden_global_offset_x
      - .offset:         72
        .size:           8
        .value_kind:     hidden_global_offset_y
      - .offset:         80
        .size:           8
        .value_kind:     hidden_global_offset_z
      - .offset:         88
        .size:           2
        .value_kind:     hidden_grid_dims
    .group_segment_fixed_size: 124
    .kernarg_segment_align: 8
    .kernarg_segment_size: 280
    .language:       OpenCL C
    .language_version:
      - 2
      - 0
    .max_flat_workgroup_size: 64
    .name:           _Z28segmented_warp_reduce_kernelIihLj31ELj100EENSt9enable_ifIXsr15benchmark_utilsE35device_test_enabled_for_warp_size_vIXT1_EEEvE4typeEPKT_PT0_PS3_
    .private_segment_fixed_size: 0
    .sgpr_count:     16
    .sgpr_spill_count: 0
    .symbol:         _Z28segmented_warp_reduce_kernelIihLj31ELj100EENSt9enable_ifIXsr15benchmark_utilsE35device_test_enabled_for_warp_size_vIXT1_EEEvE4typeEPKT_PT0_PS3_.kd
    .uniform_work_group_size: 1
    .uses_dynamic_stack: false
    .vgpr_count:     15
    .vgpr_spill_count: 0
    .wavefront_size: 64
  - .args:
      - .address_space:  global
        .offset:         0
        .size:           8
        .value_kind:     global_buffer
      - .address_space:  global
        .offset:         8
        .size:           8
        .value_kind:     global_buffer
      - .address_space:  global
        .offset:         16
        .size:           8
        .value_kind:     global_buffer
      - .offset:         24
        .size:           4
        .value_kind:     hidden_block_count_x
      - .offset:         28
        .size:           4
        .value_kind:     hidden_block_count_y
      - .offset:         32
        .size:           4
        .value_kind:     hidden_block_count_z
      - .offset:         36
        .size:           2
        .value_kind:     hidden_group_size_x
      - .offset:         38
        .size:           2
        .value_kind:     hidden_group_size_y
      - .offset:         40
        .size:           2
        .value_kind:     hidden_group_size_z
      - .offset:         42
        .size:           2
        .value_kind:     hidden_remainder_x
      - .offset:         44
        .size:           2
        .value_kind:     hidden_remainder_y
      - .offset:         46
        .size:           2
        .value_kind:     hidden_remainder_z
      - .offset:         64
        .size:           8
        .value_kind:     hidden_global_offset_x
      - .offset:         72
        .size:           8
        .value_kind:     hidden_global_offset_y
      - .offset:         80
        .size:           8
        .value_kind:     hidden_global_offset_z
      - .offset:         88
        .size:           2
        .value_kind:     hidden_grid_dims
    .group_segment_fixed_size: 0
    .kernarg_segment_align: 8
    .kernarg_segment_size: 280
    .language:       OpenCL C
    .language_version:
      - 2
      - 0
    .max_flat_workgroup_size: 64
    .name:           _Z28segmented_warp_reduce_kernelIihLj32ELj100EENSt9enable_ifIXsr15benchmark_utilsE35device_test_enabled_for_warp_size_vIXT1_EEEvE4typeEPKT_PT0_PS3_
    .private_segment_fixed_size: 0
    .sgpr_count:     16
    .sgpr_spill_count: 0
    .symbol:         _Z28segmented_warp_reduce_kernelIihLj32ELj100EENSt9enable_ifIXsr15benchmark_utilsE35device_test_enabled_for_warp_size_vIXT1_EEEvE4typeEPKT_PT0_PS3_.kd
    .uniform_work_group_size: 1
    .uses_dynamic_stack: false
    .vgpr_count:     19
    .vgpr_spill_count: 0
    .wavefront_size: 64
  - .args:
      - .address_space:  global
        .offset:         0
        .size:           8
        .value_kind:     global_buffer
      - .address_space:  global
        .offset:         8
        .size:           8
        .value_kind:     global_buffer
      - .address_space:  global
        .offset:         16
        .size:           8
        .value_kind:     global_buffer
      - .offset:         24
        .size:           4
        .value_kind:     hidden_block_count_x
      - .offset:         28
        .size:           4
        .value_kind:     hidden_block_count_y
      - .offset:         32
        .size:           4
        .value_kind:     hidden_block_count_z
      - .offset:         36
        .size:           2
        .value_kind:     hidden_group_size_x
      - .offset:         38
        .size:           2
        .value_kind:     hidden_group_size_y
      - .offset:         40
        .size:           2
        .value_kind:     hidden_group_size_z
      - .offset:         42
        .size:           2
        .value_kind:     hidden_remainder_x
      - .offset:         44
        .size:           2
        .value_kind:     hidden_remainder_y
      - .offset:         46
        .size:           2
        .value_kind:     hidden_remainder_z
      - .offset:         64
        .size:           8
        .value_kind:     hidden_global_offset_x
      - .offset:         72
        .size:           8
        .value_kind:     hidden_global_offset_y
      - .offset:         80
        .size:           8
        .value_kind:     hidden_global_offset_z
      - .offset:         88
        .size:           2
        .value_kind:     hidden_grid_dims
    .group_segment_fixed_size: 148
    .kernarg_segment_align: 8
    .kernarg_segment_size: 280
    .language:       OpenCL C
    .language_version:
      - 2
      - 0
    .max_flat_workgroup_size: 64
    .name:           _Z28segmented_warp_reduce_kernelIihLj37ELj100EENSt9enable_ifIXsr15benchmark_utilsE35device_test_enabled_for_warp_size_vIXT1_EEEvE4typeEPKT_PT0_PS3_
    .private_segment_fixed_size: 0
    .sgpr_count:     16
    .sgpr_spill_count: 0
    .symbol:         _Z28segmented_warp_reduce_kernelIihLj37ELj100EENSt9enable_ifIXsr15benchmark_utilsE35device_test_enabled_for_warp_size_vIXT1_EEEvE4typeEPKT_PT0_PS3_.kd
    .uniform_work_group_size: 1
    .uses_dynamic_stack: false
    .vgpr_count:     16
    .vgpr_spill_count: 0
    .wavefront_size: 64
  - .args:
      - .address_space:  global
        .offset:         0
        .size:           8
        .value_kind:     global_buffer
      - .address_space:  global
        .offset:         8
        .size:           8
        .value_kind:     global_buffer
      - .address_space:  global
        .offset:         16
        .size:           8
        .value_kind:     global_buffer
      - .offset:         24
        .size:           4
        .value_kind:     hidden_block_count_x
      - .offset:         28
        .size:           4
        .value_kind:     hidden_block_count_y
      - .offset:         32
        .size:           4
        .value_kind:     hidden_block_count_z
      - .offset:         36
        .size:           2
        .value_kind:     hidden_group_size_x
      - .offset:         38
        .size:           2
        .value_kind:     hidden_group_size_y
      - .offset:         40
        .size:           2
        .value_kind:     hidden_group_size_z
      - .offset:         42
        .size:           2
        .value_kind:     hidden_remainder_x
      - .offset:         44
        .size:           2
        .value_kind:     hidden_remainder_y
      - .offset:         46
        .size:           2
        .value_kind:     hidden_remainder_z
      - .offset:         64
        .size:           8
        .value_kind:     hidden_global_offset_x
      - .offset:         72
        .size:           8
        .value_kind:     hidden_global_offset_y
      - .offset:         80
        .size:           8
        .value_kind:     hidden_global_offset_z
      - .offset:         88
        .size:           2
        .value_kind:     hidden_grid_dims
    .group_segment_fixed_size: 244
    .kernarg_segment_align: 8
    .kernarg_segment_size: 280
    .language:       OpenCL C
    .language_version:
      - 2
      - 0
    .max_flat_workgroup_size: 64
    .name:           _Z28segmented_warp_reduce_kernelIihLj61ELj100EENSt9enable_ifIXsr15benchmark_utilsE35device_test_enabled_for_warp_size_vIXT1_EEEvE4typeEPKT_PT0_PS3_
    .private_segment_fixed_size: 0
    .sgpr_count:     16
    .sgpr_spill_count: 0
    .symbol:         _Z28segmented_warp_reduce_kernelIihLj61ELj100EENSt9enable_ifIXsr15benchmark_utilsE35device_test_enabled_for_warp_size_vIXT1_EEEvE4typeEPKT_PT0_PS3_.kd
    .uniform_work_group_size: 1
    .uses_dynamic_stack: false
    .vgpr_count:     16
    .vgpr_spill_count: 0
    .wavefront_size: 64
  - .args:
      - .address_space:  global
        .offset:         0
        .size:           8
        .value_kind:     global_buffer
      - .address_space:  global
        .offset:         8
        .size:           8
        .value_kind:     global_buffer
      - .address_space:  global
        .offset:         16
        .size:           8
        .value_kind:     global_buffer
      - .offset:         24
        .size:           4
        .value_kind:     hidden_block_count_x
      - .offset:         28
        .size:           4
        .value_kind:     hidden_block_count_y
      - .offset:         32
        .size:           4
        .value_kind:     hidden_block_count_z
      - .offset:         36
        .size:           2
        .value_kind:     hidden_group_size_x
      - .offset:         38
        .size:           2
        .value_kind:     hidden_group_size_y
      - .offset:         40
        .size:           2
        .value_kind:     hidden_group_size_z
      - .offset:         42
        .size:           2
        .value_kind:     hidden_remainder_x
      - .offset:         44
        .size:           2
        .value_kind:     hidden_remainder_y
      - .offset:         46
        .size:           2
        .value_kind:     hidden_remainder_z
      - .offset:         64
        .size:           8
        .value_kind:     hidden_global_offset_x
      - .offset:         72
        .size:           8
        .value_kind:     hidden_global_offset_y
      - .offset:         80
        .size:           8
        .value_kind:     hidden_global_offset_z
      - .offset:         88
        .size:           2
        .value_kind:     hidden_grid_dims
    .group_segment_fixed_size: 0
    .kernarg_segment_align: 8
    .kernarg_segment_size: 280
    .language:       OpenCL C
    .language_version:
      - 2
      - 0
    .max_flat_workgroup_size: 64
    .name:           _Z28segmented_warp_reduce_kernelIihLj64ELj100EENSt9enable_ifIXsr15benchmark_utilsE35device_test_enabled_for_warp_size_vIXT1_EEEvE4typeEPKT_PT0_PS3_
    .private_segment_fixed_size: 0
    .sgpr_count:     16
    .sgpr_spill_count: 0
    .symbol:         _Z28segmented_warp_reduce_kernelIihLj64ELj100EENSt9enable_ifIXsr15benchmark_utilsE35device_test_enabled_for_warp_size_vIXT1_EEEvE4typeEPKT_PT0_PS3_.kd
    .uniform_work_group_size: 1
    .uses_dynamic_stack: false
    .vgpr_count:     20
    .vgpr_spill_count: 0
    .wavefront_size: 64
  - .args:
      - .address_space:  global
        .offset:         0
        .size:           8
        .value_kind:     global_buffer
      - .address_space:  global
        .offset:         8
        .size:           8
        .value_kind:     global_buffer
      - .address_space:  global
        .offset:         16
        .size:           8
        .value_kind:     global_buffer
      - .offset:         24
        .size:           4
        .value_kind:     hidden_block_count_x
      - .offset:         28
        .size:           4
        .value_kind:     hidden_block_count_y
      - .offset:         32
        .size:           4
        .value_kind:     hidden_block_count_z
      - .offset:         36
        .size:           2
        .value_kind:     hidden_group_size_x
      - .offset:         38
        .size:           2
        .value_kind:     hidden_group_size_y
      - .offset:         40
        .size:           2
        .value_kind:     hidden_group_size_z
      - .offset:         42
        .size:           2
        .value_kind:     hidden_remainder_x
      - .offset:         44
        .size:           2
        .value_kind:     hidden_remainder_y
      - .offset:         46
        .size:           2
        .value_kind:     hidden_remainder_z
      - .offset:         64
        .size:           8
        .value_kind:     hidden_global_offset_x
      - .offset:         72
        .size:           8
        .value_kind:     hidden_global_offset_y
      - .offset:         80
        .size:           8
        .value_kind:     hidden_global_offset_z
      - .offset:         88
        .size:           2
        .value_kind:     hidden_grid_dims
    .group_segment_fixed_size: 60
    .kernarg_segment_align: 8
    .kernarg_segment_size: 280
    .language:       OpenCL C
    .language_version:
      - 2
      - 0
    .max_flat_workgroup_size: 64
    .name:           _Z28segmented_warp_reduce_kernelIfhLj15ELj100EENSt9enable_ifIXsr15benchmark_utilsE35device_test_enabled_for_warp_size_vIXT1_EEEvE4typeEPKT_PT0_PS3_
    .private_segment_fixed_size: 0
    .sgpr_count:     16
    .sgpr_spill_count: 0
    .symbol:         _Z28segmented_warp_reduce_kernelIfhLj15ELj100EENSt9enable_ifIXsr15benchmark_utilsE35device_test_enabled_for_warp_size_vIXT1_EEEvE4typeEPKT_PT0_PS3_.kd
    .uniform_work_group_size: 1
    .uses_dynamic_stack: false
    .vgpr_count:     14
    .vgpr_spill_count: 0
    .wavefront_size: 64
  - .args:
      - .address_space:  global
        .offset:         0
        .size:           8
        .value_kind:     global_buffer
      - .address_space:  global
        .offset:         8
        .size:           8
        .value_kind:     global_buffer
      - .address_space:  global
        .offset:         16
        .size:           8
        .value_kind:     global_buffer
      - .offset:         24
        .size:           4
        .value_kind:     hidden_block_count_x
      - .offset:         28
        .size:           4
        .value_kind:     hidden_block_count_y
      - .offset:         32
        .size:           4
        .value_kind:     hidden_block_count_z
      - .offset:         36
        .size:           2
        .value_kind:     hidden_group_size_x
      - .offset:         38
        .size:           2
        .value_kind:     hidden_group_size_y
      - .offset:         40
        .size:           2
        .value_kind:     hidden_group_size_z
      - .offset:         42
        .size:           2
        .value_kind:     hidden_remainder_x
      - .offset:         44
        .size:           2
        .value_kind:     hidden_remainder_y
      - .offset:         46
        .size:           2
        .value_kind:     hidden_remainder_z
      - .offset:         64
        .size:           8
        .value_kind:     hidden_global_offset_x
      - .offset:         72
        .size:           8
        .value_kind:     hidden_global_offset_y
      - .offset:         80
        .size:           8
        .value_kind:     hidden_global_offset_z
      - .offset:         88
        .size:           2
        .value_kind:     hidden_grid_dims
    .group_segment_fixed_size: 0
    .kernarg_segment_align: 8
    .kernarg_segment_size: 280
    .language:       OpenCL C
    .language_version:
      - 2
      - 0
    .max_flat_workgroup_size: 64
    .name:           _Z28segmented_warp_reduce_kernelIfhLj16ELj100EENSt9enable_ifIXsr15benchmark_utilsE35device_test_enabled_for_warp_size_vIXT1_EEEvE4typeEPKT_PT0_PS3_
    .private_segment_fixed_size: 0
    .sgpr_count:     16
    .sgpr_spill_count: 0
    .symbol:         _Z28segmented_warp_reduce_kernelIfhLj16ELj100EENSt9enable_ifIXsr15benchmark_utilsE35device_test_enabled_for_warp_size_vIXT1_EEEvE4typeEPKT_PT0_PS3_.kd
    .uniform_work_group_size: 1
    .uses_dynamic_stack: false
    .vgpr_count:     16
    .vgpr_spill_count: 0
    .wavefront_size: 64
  - .args:
      - .address_space:  global
        .offset:         0
        .size:           8
        .value_kind:     global_buffer
      - .address_space:  global
        .offset:         8
        .size:           8
        .value_kind:     global_buffer
      - .address_space:  global
        .offset:         16
        .size:           8
        .value_kind:     global_buffer
      - .offset:         24
        .size:           4
        .value_kind:     hidden_block_count_x
      - .offset:         28
        .size:           4
        .value_kind:     hidden_block_count_y
      - .offset:         32
        .size:           4
        .value_kind:     hidden_block_count_z
      - .offset:         36
        .size:           2
        .value_kind:     hidden_group_size_x
      - .offset:         38
        .size:           2
        .value_kind:     hidden_group_size_y
      - .offset:         40
        .size:           2
        .value_kind:     hidden_group_size_z
      - .offset:         42
        .size:           2
        .value_kind:     hidden_remainder_x
      - .offset:         44
        .size:           2
        .value_kind:     hidden_remainder_y
      - .offset:         46
        .size:           2
        .value_kind:     hidden_remainder_z
      - .offset:         64
        .size:           8
        .value_kind:     hidden_global_offset_x
      - .offset:         72
        .size:           8
        .value_kind:     hidden_global_offset_y
      - .offset:         80
        .size:           8
        .value_kind:     hidden_global_offset_z
      - .offset:         88
        .size:           2
        .value_kind:     hidden_grid_dims
    .group_segment_fixed_size: 124
    .kernarg_segment_align: 8
    .kernarg_segment_size: 280
    .language:       OpenCL C
    .language_version:
      - 2
      - 0
    .max_flat_workgroup_size: 64
    .name:           _Z28segmented_warp_reduce_kernelIfhLj31ELj100EENSt9enable_ifIXsr15benchmark_utilsE35device_test_enabled_for_warp_size_vIXT1_EEEvE4typeEPKT_PT0_PS3_
    .private_segment_fixed_size: 0
    .sgpr_count:     16
    .sgpr_spill_count: 0
    .symbol:         _Z28segmented_warp_reduce_kernelIfhLj31ELj100EENSt9enable_ifIXsr15benchmark_utilsE35device_test_enabled_for_warp_size_vIXT1_EEEvE4typeEPKT_PT0_PS3_.kd
    .uniform_work_group_size: 1
    .uses_dynamic_stack: false
    .vgpr_count:     15
    .vgpr_spill_count: 0
    .wavefront_size: 64
  - .args:
      - .address_space:  global
        .offset:         0
        .size:           8
        .value_kind:     global_buffer
      - .address_space:  global
        .offset:         8
        .size:           8
        .value_kind:     global_buffer
      - .address_space:  global
        .offset:         16
        .size:           8
        .value_kind:     global_buffer
      - .offset:         24
        .size:           4
        .value_kind:     hidden_block_count_x
      - .offset:         28
        .size:           4
        .value_kind:     hidden_block_count_y
      - .offset:         32
        .size:           4
        .value_kind:     hidden_block_count_z
      - .offset:         36
        .size:           2
        .value_kind:     hidden_group_size_x
      - .offset:         38
        .size:           2
        .value_kind:     hidden_group_size_y
      - .offset:         40
        .size:           2
        .value_kind:     hidden_group_size_z
      - .offset:         42
        .size:           2
        .value_kind:     hidden_remainder_x
      - .offset:         44
        .size:           2
        .value_kind:     hidden_remainder_y
      - .offset:         46
        .size:           2
        .value_kind:     hidden_remainder_z
      - .offset:         64
        .size:           8
        .value_kind:     hidden_global_offset_x
      - .offset:         72
        .size:           8
        .value_kind:     hidden_global_offset_y
      - .offset:         80
        .size:           8
        .value_kind:     hidden_global_offset_z
      - .offset:         88
        .size:           2
        .value_kind:     hidden_grid_dims
    .group_segment_fixed_size: 0
    .kernarg_segment_align: 8
    .kernarg_segment_size: 280
    .language:       OpenCL C
    .language_version:
      - 2
      - 0
    .max_flat_workgroup_size: 64
    .name:           _Z28segmented_warp_reduce_kernelIfhLj32ELj100EENSt9enable_ifIXsr15benchmark_utilsE35device_test_enabled_for_warp_size_vIXT1_EEEvE4typeEPKT_PT0_PS3_
    .private_segment_fixed_size: 0
    .sgpr_count:     14
    .sgpr_spill_count: 0
    .symbol:         _Z28segmented_warp_reduce_kernelIfhLj32ELj100EENSt9enable_ifIXsr15benchmark_utilsE35device_test_enabled_for_warp_size_vIXT1_EEEvE4typeEPKT_PT0_PS3_.kd
    .uniform_work_group_size: 1
    .uses_dynamic_stack: false
    .vgpr_count:     19
    .vgpr_spill_count: 0
    .wavefront_size: 64
  - .args:
      - .address_space:  global
        .offset:         0
        .size:           8
        .value_kind:     global_buffer
      - .address_space:  global
        .offset:         8
        .size:           8
        .value_kind:     global_buffer
      - .address_space:  global
        .offset:         16
        .size:           8
        .value_kind:     global_buffer
      - .offset:         24
        .size:           4
        .value_kind:     hidden_block_count_x
      - .offset:         28
        .size:           4
        .value_kind:     hidden_block_count_y
      - .offset:         32
        .size:           4
        .value_kind:     hidden_block_count_z
      - .offset:         36
        .size:           2
        .value_kind:     hidden_group_size_x
      - .offset:         38
        .size:           2
        .value_kind:     hidden_group_size_y
      - .offset:         40
        .size:           2
        .value_kind:     hidden_group_size_z
      - .offset:         42
        .size:           2
        .value_kind:     hidden_remainder_x
      - .offset:         44
        .size:           2
        .value_kind:     hidden_remainder_y
      - .offset:         46
        .size:           2
        .value_kind:     hidden_remainder_z
      - .offset:         64
        .size:           8
        .value_kind:     hidden_global_offset_x
      - .offset:         72
        .size:           8
        .value_kind:     hidden_global_offset_y
      - .offset:         80
        .size:           8
        .value_kind:     hidden_global_offset_z
      - .offset:         88
        .size:           2
        .value_kind:     hidden_grid_dims
    .group_segment_fixed_size: 148
    .kernarg_segment_align: 8
    .kernarg_segment_size: 280
    .language:       OpenCL C
    .language_version:
      - 2
      - 0
    .max_flat_workgroup_size: 64
    .name:           _Z28segmented_warp_reduce_kernelIfhLj37ELj100EENSt9enable_ifIXsr15benchmark_utilsE35device_test_enabled_for_warp_size_vIXT1_EEEvE4typeEPKT_PT0_PS3_
    .private_segment_fixed_size: 0
    .sgpr_count:     16
    .sgpr_spill_count: 0
    .symbol:         _Z28segmented_warp_reduce_kernelIfhLj37ELj100EENSt9enable_ifIXsr15benchmark_utilsE35device_test_enabled_for_warp_size_vIXT1_EEEvE4typeEPKT_PT0_PS3_.kd
    .uniform_work_group_size: 1
    .uses_dynamic_stack: false
    .vgpr_count:     16
    .vgpr_spill_count: 0
    .wavefront_size: 64
  - .args:
      - .address_space:  global
        .offset:         0
        .size:           8
        .value_kind:     global_buffer
      - .address_space:  global
        .offset:         8
        .size:           8
        .value_kind:     global_buffer
      - .address_space:  global
        .offset:         16
        .size:           8
        .value_kind:     global_buffer
      - .offset:         24
        .size:           4
        .value_kind:     hidden_block_count_x
      - .offset:         28
        .size:           4
        .value_kind:     hidden_block_count_y
      - .offset:         32
        .size:           4
        .value_kind:     hidden_block_count_z
      - .offset:         36
        .size:           2
        .value_kind:     hidden_group_size_x
      - .offset:         38
        .size:           2
        .value_kind:     hidden_group_size_y
      - .offset:         40
        .size:           2
        .value_kind:     hidden_group_size_z
      - .offset:         42
        .size:           2
        .value_kind:     hidden_remainder_x
      - .offset:         44
        .size:           2
        .value_kind:     hidden_remainder_y
      - .offset:         46
        .size:           2
        .value_kind:     hidden_remainder_z
      - .offset:         64
        .size:           8
        .value_kind:     hidden_global_offset_x
      - .offset:         72
        .size:           8
        .value_kind:     hidden_global_offset_y
      - .offset:         80
        .size:           8
        .value_kind:     hidden_global_offset_z
      - .offset:         88
        .size:           2
        .value_kind:     hidden_grid_dims
    .group_segment_fixed_size: 244
    .kernarg_segment_align: 8
    .kernarg_segment_size: 280
    .language:       OpenCL C
    .language_version:
      - 2
      - 0
    .max_flat_workgroup_size: 64
    .name:           _Z28segmented_warp_reduce_kernelIfhLj61ELj100EENSt9enable_ifIXsr15benchmark_utilsE35device_test_enabled_for_warp_size_vIXT1_EEEvE4typeEPKT_PT0_PS3_
    .private_segment_fixed_size: 0
    .sgpr_count:     16
    .sgpr_spill_count: 0
    .symbol:         _Z28segmented_warp_reduce_kernelIfhLj61ELj100EENSt9enable_ifIXsr15benchmark_utilsE35device_test_enabled_for_warp_size_vIXT1_EEEvE4typeEPKT_PT0_PS3_.kd
    .uniform_work_group_size: 1
    .uses_dynamic_stack: false
    .vgpr_count:     16
    .vgpr_spill_count: 0
    .wavefront_size: 64
  - .args:
      - .address_space:  global
        .offset:         0
        .size:           8
        .value_kind:     global_buffer
      - .address_space:  global
        .offset:         8
        .size:           8
        .value_kind:     global_buffer
      - .address_space:  global
        .offset:         16
        .size:           8
        .value_kind:     global_buffer
      - .offset:         24
        .size:           4
        .value_kind:     hidden_block_count_x
      - .offset:         28
        .size:           4
        .value_kind:     hidden_block_count_y
      - .offset:         32
        .size:           4
        .value_kind:     hidden_block_count_z
      - .offset:         36
        .size:           2
        .value_kind:     hidden_group_size_x
      - .offset:         38
        .size:           2
        .value_kind:     hidden_group_size_y
      - .offset:         40
        .size:           2
        .value_kind:     hidden_group_size_z
      - .offset:         42
        .size:           2
        .value_kind:     hidden_remainder_x
      - .offset:         44
        .size:           2
        .value_kind:     hidden_remainder_y
      - .offset:         46
        .size:           2
        .value_kind:     hidden_remainder_z
      - .offset:         64
        .size:           8
        .value_kind:     hidden_global_offset_x
      - .offset:         72
        .size:           8
        .value_kind:     hidden_global_offset_y
      - .offset:         80
        .size:           8
        .value_kind:     hidden_global_offset_z
      - .offset:         88
        .size:           2
        .value_kind:     hidden_grid_dims
    .group_segment_fixed_size: 0
    .kernarg_segment_align: 8
    .kernarg_segment_size: 280
    .language:       OpenCL C
    .language_version:
      - 2
      - 0
    .max_flat_workgroup_size: 64
    .name:           _Z28segmented_warp_reduce_kernelIfhLj64ELj100EENSt9enable_ifIXsr15benchmark_utilsE35device_test_enabled_for_warp_size_vIXT1_EEEvE4typeEPKT_PT0_PS3_
    .private_segment_fixed_size: 0
    .sgpr_count:     16
    .sgpr_spill_count: 0
    .symbol:         _Z28segmented_warp_reduce_kernelIfhLj64ELj100EENSt9enable_ifIXsr15benchmark_utilsE35device_test_enabled_for_warp_size_vIXT1_EEEvE4typeEPKT_PT0_PS3_.kd
    .uniform_work_group_size: 1
    .uses_dynamic_stack: false
    .vgpr_count:     20
    .vgpr_spill_count: 0
    .wavefront_size: 64
  - .args:
      - .address_space:  global
        .offset:         0
        .size:           8
        .value_kind:     global_buffer
      - .address_space:  global
        .offset:         8
        .size:           8
        .value_kind:     global_buffer
      - .address_space:  global
        .offset:         16
        .size:           8
        .value_kind:     global_buffer
      - .offset:         24
        .size:           4
        .value_kind:     hidden_block_count_x
      - .offset:         28
        .size:           4
        .value_kind:     hidden_block_count_y
      - .offset:         32
        .size:           4
        .value_kind:     hidden_block_count_z
      - .offset:         36
        .size:           2
        .value_kind:     hidden_group_size_x
      - .offset:         38
        .size:           2
        .value_kind:     hidden_group_size_y
      - .offset:         40
        .size:           2
        .value_kind:     hidden_group_size_z
      - .offset:         42
        .size:           2
        .value_kind:     hidden_remainder_x
      - .offset:         44
        .size:           2
        .value_kind:     hidden_remainder_y
      - .offset:         46
        .size:           2
        .value_kind:     hidden_remainder_z
      - .offset:         64
        .size:           8
        .value_kind:     hidden_global_offset_x
      - .offset:         72
        .size:           8
        .value_kind:     hidden_global_offset_y
      - .offset:         80
        .size:           8
        .value_kind:     hidden_global_offset_z
      - .offset:         88
        .size:           2
        .value_kind:     hidden_grid_dims
    .group_segment_fixed_size: 120
    .kernarg_segment_align: 8
    .kernarg_segment_size: 280
    .language:       OpenCL C
    .language_version:
      - 2
      - 0
    .max_flat_workgroup_size: 64
    .name:           _Z28segmented_warp_reduce_kernelIdhLj15ELj100EENSt9enable_ifIXsr15benchmark_utilsE35device_test_enabled_for_warp_size_vIXT1_EEEvE4typeEPKT_PT0_PS3_
    .private_segment_fixed_size: 0
    .sgpr_count:     16
    .sgpr_spill_count: 0
    .symbol:         _Z28segmented_warp_reduce_kernelIdhLj15ELj100EENSt9enable_ifIXsr15benchmark_utilsE35device_test_enabled_for_warp_size_vIXT1_EEEvE4typeEPKT_PT0_PS3_.kd
    .uniform_work_group_size: 1
    .uses_dynamic_stack: false
    .vgpr_count:     16
    .vgpr_spill_count: 0
    .wavefront_size: 64
  - .args:
      - .address_space:  global
        .offset:         0
        .size:           8
        .value_kind:     global_buffer
      - .address_space:  global
        .offset:         8
        .size:           8
        .value_kind:     global_buffer
      - .address_space:  global
        .offset:         16
        .size:           8
        .value_kind:     global_buffer
      - .offset:         24
        .size:           4
        .value_kind:     hidden_block_count_x
      - .offset:         28
        .size:           4
        .value_kind:     hidden_block_count_y
      - .offset:         32
        .size:           4
        .value_kind:     hidden_block_count_z
      - .offset:         36
        .size:           2
        .value_kind:     hidden_group_size_x
      - .offset:         38
        .size:           2
        .value_kind:     hidden_group_size_y
      - .offset:         40
        .size:           2
        .value_kind:     hidden_group_size_z
      - .offset:         42
        .size:           2
        .value_kind:     hidden_remainder_x
      - .offset:         44
        .size:           2
        .value_kind:     hidden_remainder_y
      - .offset:         46
        .size:           2
        .value_kind:     hidden_remainder_z
      - .offset:         64
        .size:           8
        .value_kind:     hidden_global_offset_x
      - .offset:         72
        .size:           8
        .value_kind:     hidden_global_offset_y
      - .offset:         80
        .size:           8
        .value_kind:     hidden_global_offset_z
      - .offset:         88
        .size:           2
        .value_kind:     hidden_grid_dims
    .group_segment_fixed_size: 0
    .kernarg_segment_align: 8
    .kernarg_segment_size: 280
    .language:       OpenCL C
    .language_version:
      - 2
      - 0
    .max_flat_workgroup_size: 64
    .name:           _Z28segmented_warp_reduce_kernelIdhLj16ELj100EENSt9enable_ifIXsr15benchmark_utilsE35device_test_enabled_for_warp_size_vIXT1_EEEvE4typeEPKT_PT0_PS3_
    .private_segment_fixed_size: 0
    .sgpr_count:     16
    .sgpr_spill_count: 0
    .symbol:         _Z28segmented_warp_reduce_kernelIdhLj16ELj100EENSt9enable_ifIXsr15benchmark_utilsE35device_test_enabled_for_warp_size_vIXT1_EEEvE4typeEPKT_PT0_PS3_.kd
    .uniform_work_group_size: 1
    .uses_dynamic_stack: false
    .vgpr_count:     20
    .vgpr_spill_count: 0
    .wavefront_size: 64
  - .args:
      - .address_space:  global
        .offset:         0
        .size:           8
        .value_kind:     global_buffer
      - .address_space:  global
        .offset:         8
        .size:           8
        .value_kind:     global_buffer
      - .address_space:  global
        .offset:         16
        .size:           8
        .value_kind:     global_buffer
      - .offset:         24
        .size:           4
        .value_kind:     hidden_block_count_x
      - .offset:         28
        .size:           4
        .value_kind:     hidden_block_count_y
      - .offset:         32
        .size:           4
        .value_kind:     hidden_block_count_z
      - .offset:         36
        .size:           2
        .value_kind:     hidden_group_size_x
      - .offset:         38
        .size:           2
        .value_kind:     hidden_group_size_y
      - .offset:         40
        .size:           2
        .value_kind:     hidden_group_size_z
      - .offset:         42
        .size:           2
        .value_kind:     hidden_remainder_x
      - .offset:         44
        .size:           2
        .value_kind:     hidden_remainder_y
      - .offset:         46
        .size:           2
        .value_kind:     hidden_remainder_z
      - .offset:         64
        .size:           8
        .value_kind:     hidden_global_offset_x
      - .offset:         72
        .size:           8
        .value_kind:     hidden_global_offset_y
      - .offset:         80
        .size:           8
        .value_kind:     hidden_global_offset_z
      - .offset:         88
        .size:           2
        .value_kind:     hidden_grid_dims
    .group_segment_fixed_size: 248
    .kernarg_segment_align: 8
    .kernarg_segment_size: 280
    .language:       OpenCL C
    .language_version:
      - 2
      - 0
    .max_flat_workgroup_size: 64
    .name:           _Z28segmented_warp_reduce_kernelIdhLj31ELj100EENSt9enable_ifIXsr15benchmark_utilsE35device_test_enabled_for_warp_size_vIXT1_EEEvE4typeEPKT_PT0_PS3_
    .private_segment_fixed_size: 0
    .sgpr_count:     16
    .sgpr_spill_count: 0
    .symbol:         _Z28segmented_warp_reduce_kernelIdhLj31ELj100EENSt9enable_ifIXsr15benchmark_utilsE35device_test_enabled_for_warp_size_vIXT1_EEEvE4typeEPKT_PT0_PS3_.kd
    .uniform_work_group_size: 1
    .uses_dynamic_stack: false
    .vgpr_count:     17
    .vgpr_spill_count: 0
    .wavefront_size: 64
  - .args:
      - .address_space:  global
        .offset:         0
        .size:           8
        .value_kind:     global_buffer
      - .address_space:  global
        .offset:         8
        .size:           8
        .value_kind:     global_buffer
      - .address_space:  global
        .offset:         16
        .size:           8
        .value_kind:     global_buffer
      - .offset:         24
        .size:           4
        .value_kind:     hidden_block_count_x
      - .offset:         28
        .size:           4
        .value_kind:     hidden_block_count_y
      - .offset:         32
        .size:           4
        .value_kind:     hidden_block_count_z
      - .offset:         36
        .size:           2
        .value_kind:     hidden_group_size_x
      - .offset:         38
        .size:           2
        .value_kind:     hidden_group_size_y
      - .offset:         40
        .size:           2
        .value_kind:     hidden_group_size_z
      - .offset:         42
        .size:           2
        .value_kind:     hidden_remainder_x
      - .offset:         44
        .size:           2
        .value_kind:     hidden_remainder_y
      - .offset:         46
        .size:           2
        .value_kind:     hidden_remainder_z
      - .offset:         64
        .size:           8
        .value_kind:     hidden_global_offset_x
      - .offset:         72
        .size:           8
        .value_kind:     hidden_global_offset_y
      - .offset:         80
        .size:           8
        .value_kind:     hidden_global_offset_z
      - .offset:         88
        .size:           2
        .value_kind:     hidden_grid_dims
    .group_segment_fixed_size: 0
    .kernarg_segment_align: 8
    .kernarg_segment_size: 280
    .language:       OpenCL C
    .language_version:
      - 2
      - 0
    .max_flat_workgroup_size: 64
    .name:           _Z28segmented_warp_reduce_kernelIdhLj32ELj100EENSt9enable_ifIXsr15benchmark_utilsE35device_test_enabled_for_warp_size_vIXT1_EEEvE4typeEPKT_PT0_PS3_
    .private_segment_fixed_size: 0
    .sgpr_count:     16
    .sgpr_spill_count: 0
    .symbol:         _Z28segmented_warp_reduce_kernelIdhLj32ELj100EENSt9enable_ifIXsr15benchmark_utilsE35device_test_enabled_for_warp_size_vIXT1_EEEvE4typeEPKT_PT0_PS3_.kd
    .uniform_work_group_size: 1
    .uses_dynamic_stack: false
    .vgpr_count:     21
    .vgpr_spill_count: 0
    .wavefront_size: 64
  - .args:
      - .address_space:  global
        .offset:         0
        .size:           8
        .value_kind:     global_buffer
      - .address_space:  global
        .offset:         8
        .size:           8
        .value_kind:     global_buffer
      - .address_space:  global
        .offset:         16
        .size:           8
        .value_kind:     global_buffer
      - .offset:         24
        .size:           4
        .value_kind:     hidden_block_count_x
      - .offset:         28
        .size:           4
        .value_kind:     hidden_block_count_y
      - .offset:         32
        .size:           4
        .value_kind:     hidden_block_count_z
      - .offset:         36
        .size:           2
        .value_kind:     hidden_group_size_x
      - .offset:         38
        .size:           2
        .value_kind:     hidden_group_size_y
      - .offset:         40
        .size:           2
        .value_kind:     hidden_group_size_z
      - .offset:         42
        .size:           2
        .value_kind:     hidden_remainder_x
      - .offset:         44
        .size:           2
        .value_kind:     hidden_remainder_y
      - .offset:         46
        .size:           2
        .value_kind:     hidden_remainder_z
      - .offset:         64
        .size:           8
        .value_kind:     hidden_global_offset_x
      - .offset:         72
        .size:           8
        .value_kind:     hidden_global_offset_y
      - .offset:         80
        .size:           8
        .value_kind:     hidden_global_offset_z
      - .offset:         88
        .size:           2
        .value_kind:     hidden_grid_dims
    .group_segment_fixed_size: 296
    .kernarg_segment_align: 8
    .kernarg_segment_size: 280
    .language:       OpenCL C
    .language_version:
      - 2
      - 0
    .max_flat_workgroup_size: 64
    .name:           _Z28segmented_warp_reduce_kernelIdhLj37ELj100EENSt9enable_ifIXsr15benchmark_utilsE35device_test_enabled_for_warp_size_vIXT1_EEEvE4typeEPKT_PT0_PS3_
    .private_segment_fixed_size: 0
    .sgpr_count:     16
    .sgpr_spill_count: 0
    .symbol:         _Z28segmented_warp_reduce_kernelIdhLj37ELj100EENSt9enable_ifIXsr15benchmark_utilsE35device_test_enabled_for_warp_size_vIXT1_EEEvE4typeEPKT_PT0_PS3_.kd
    .uniform_work_group_size: 1
    .uses_dynamic_stack: false
    .vgpr_count:     18
    .vgpr_spill_count: 0
    .wavefront_size: 64
  - .args:
      - .address_space:  global
        .offset:         0
        .size:           8
        .value_kind:     global_buffer
      - .address_space:  global
        .offset:         8
        .size:           8
        .value_kind:     global_buffer
      - .address_space:  global
        .offset:         16
        .size:           8
        .value_kind:     global_buffer
      - .offset:         24
        .size:           4
        .value_kind:     hidden_block_count_x
      - .offset:         28
        .size:           4
        .value_kind:     hidden_block_count_y
      - .offset:         32
        .size:           4
        .value_kind:     hidden_block_count_z
      - .offset:         36
        .size:           2
        .value_kind:     hidden_group_size_x
      - .offset:         38
        .size:           2
        .value_kind:     hidden_group_size_y
      - .offset:         40
        .size:           2
        .value_kind:     hidden_group_size_z
      - .offset:         42
        .size:           2
        .value_kind:     hidden_remainder_x
      - .offset:         44
        .size:           2
        .value_kind:     hidden_remainder_y
      - .offset:         46
        .size:           2
        .value_kind:     hidden_remainder_z
      - .offset:         64
        .size:           8
        .value_kind:     hidden_global_offset_x
      - .offset:         72
        .size:           8
        .value_kind:     hidden_global_offset_y
      - .offset:         80
        .size:           8
        .value_kind:     hidden_global_offset_z
      - .offset:         88
        .size:           2
        .value_kind:     hidden_grid_dims
    .group_segment_fixed_size: 488
    .kernarg_segment_align: 8
    .kernarg_segment_size: 280
    .language:       OpenCL C
    .language_version:
      - 2
      - 0
    .max_flat_workgroup_size: 64
    .name:           _Z28segmented_warp_reduce_kernelIdhLj61ELj100EENSt9enable_ifIXsr15benchmark_utilsE35device_test_enabled_for_warp_size_vIXT1_EEEvE4typeEPKT_PT0_PS3_
    .private_segment_fixed_size: 0
    .sgpr_count:     16
    .sgpr_spill_count: 0
    .symbol:         _Z28segmented_warp_reduce_kernelIdhLj61ELj100EENSt9enable_ifIXsr15benchmark_utilsE35device_test_enabled_for_warp_size_vIXT1_EEEvE4typeEPKT_PT0_PS3_.kd
    .uniform_work_group_size: 1
    .uses_dynamic_stack: false
    .vgpr_count:     18
    .vgpr_spill_count: 0
    .wavefront_size: 64
  - .args:
      - .address_space:  global
        .offset:         0
        .size:           8
        .value_kind:     global_buffer
      - .address_space:  global
        .offset:         8
        .size:           8
        .value_kind:     global_buffer
      - .address_space:  global
        .offset:         16
        .size:           8
        .value_kind:     global_buffer
      - .offset:         24
        .size:           4
        .value_kind:     hidden_block_count_x
      - .offset:         28
        .size:           4
        .value_kind:     hidden_block_count_y
      - .offset:         32
        .size:           4
        .value_kind:     hidden_block_count_z
      - .offset:         36
        .size:           2
        .value_kind:     hidden_group_size_x
      - .offset:         38
        .size:           2
        .value_kind:     hidden_group_size_y
      - .offset:         40
        .size:           2
        .value_kind:     hidden_group_size_z
      - .offset:         42
        .size:           2
        .value_kind:     hidden_remainder_x
      - .offset:         44
        .size:           2
        .value_kind:     hidden_remainder_y
      - .offset:         46
        .size:           2
        .value_kind:     hidden_remainder_z
      - .offset:         64
        .size:           8
        .value_kind:     hidden_global_offset_x
      - .offset:         72
        .size:           8
        .value_kind:     hidden_global_offset_y
      - .offset:         80
        .size:           8
        .value_kind:     hidden_global_offset_z
      - .offset:         88
        .size:           2
        .value_kind:     hidden_grid_dims
    .group_segment_fixed_size: 0
    .kernarg_segment_align: 8
    .kernarg_segment_size: 280
    .language:       OpenCL C
    .language_version:
      - 2
      - 0
    .max_flat_workgroup_size: 64
    .name:           _Z28segmented_warp_reduce_kernelIdhLj64ELj100EENSt9enable_ifIXsr15benchmark_utilsE35device_test_enabled_for_warp_size_vIXT1_EEEvE4typeEPKT_PT0_PS3_
    .private_segment_fixed_size: 0
    .sgpr_count:     16
    .sgpr_spill_count: 0
    .symbol:         _Z28segmented_warp_reduce_kernelIdhLj64ELj100EENSt9enable_ifIXsr15benchmark_utilsE35device_test_enabled_for_warp_size_vIXT1_EEEvE4typeEPKT_PT0_PS3_.kd
    .uniform_work_group_size: 1
    .uses_dynamic_stack: false
    .vgpr_count:     22
    .vgpr_spill_count: 0
    .wavefront_size: 64
  - .args:
      - .address_space:  global
        .offset:         0
        .size:           8
        .value_kind:     global_buffer
      - .address_space:  global
        .offset:         8
        .size:           8
        .value_kind:     global_buffer
      - .address_space:  global
        .offset:         16
        .size:           8
        .value_kind:     global_buffer
      - .offset:         24
        .size:           4
        .value_kind:     hidden_block_count_x
      - .offset:         28
        .size:           4
        .value_kind:     hidden_block_count_y
      - .offset:         32
        .size:           4
        .value_kind:     hidden_block_count_z
      - .offset:         36
        .size:           2
        .value_kind:     hidden_group_size_x
      - .offset:         38
        .size:           2
        .value_kind:     hidden_group_size_y
      - .offset:         40
        .size:           2
        .value_kind:     hidden_group_size_z
      - .offset:         42
        .size:           2
        .value_kind:     hidden_remainder_x
      - .offset:         44
        .size:           2
        .value_kind:     hidden_remainder_y
      - .offset:         46
        .size:           2
        .value_kind:     hidden_remainder_z
      - .offset:         64
        .size:           8
        .value_kind:     hidden_global_offset_x
      - .offset:         72
        .size:           8
        .value_kind:     hidden_global_offset_y
      - .offset:         80
        .size:           8
        .value_kind:     hidden_global_offset_z
      - .offset:         88
        .size:           2
        .value_kind:     hidden_grid_dims
    .group_segment_fixed_size: 15
    .kernarg_segment_align: 8
    .kernarg_segment_size: 280
    .language:       OpenCL C
    .language_version:
      - 2
      - 0
    .max_flat_workgroup_size: 64
    .name:           _Z28segmented_warp_reduce_kernelIahLj15ELj100EENSt9enable_ifIXsr15benchmark_utilsE35device_test_enabled_for_warp_size_vIXT1_EEEvE4typeEPKT_PT0_PS3_
    .private_segment_fixed_size: 0
    .sgpr_count:     16
    .sgpr_spill_count: 0
    .symbol:         _Z28segmented_warp_reduce_kernelIahLj15ELj100EENSt9enable_ifIXsr15benchmark_utilsE35device_test_enabled_for_warp_size_vIXT1_EEEvE4typeEPKT_PT0_PS3_.kd
    .uniform_work_group_size: 1
    .uses_dynamic_stack: false
    .vgpr_count:     12
    .vgpr_spill_count: 0
    .wavefront_size: 64
  - .args:
      - .address_space:  global
        .offset:         0
        .size:           8
        .value_kind:     global_buffer
      - .address_space:  global
        .offset:         8
        .size:           8
        .value_kind:     global_buffer
      - .address_space:  global
        .offset:         16
        .size:           8
        .value_kind:     global_buffer
      - .offset:         24
        .size:           4
        .value_kind:     hidden_block_count_x
      - .offset:         28
        .size:           4
        .value_kind:     hidden_block_count_y
      - .offset:         32
        .size:           4
        .value_kind:     hidden_block_count_z
      - .offset:         36
        .size:           2
        .value_kind:     hidden_group_size_x
      - .offset:         38
        .size:           2
        .value_kind:     hidden_group_size_y
      - .offset:         40
        .size:           2
        .value_kind:     hidden_group_size_z
      - .offset:         42
        .size:           2
        .value_kind:     hidden_remainder_x
      - .offset:         44
        .size:           2
        .value_kind:     hidden_remainder_y
      - .offset:         46
        .size:           2
        .value_kind:     hidden_remainder_z
      - .offset:         64
        .size:           8
        .value_kind:     hidden_global_offset_x
      - .offset:         72
        .size:           8
        .value_kind:     hidden_global_offset_y
      - .offset:         80
        .size:           8
        .value_kind:     hidden_global_offset_z
      - .offset:         88
        .size:           2
        .value_kind:     hidden_grid_dims
    .group_segment_fixed_size: 0
    .kernarg_segment_align: 8
    .kernarg_segment_size: 280
    .language:       OpenCL C
    .language_version:
      - 2
      - 0
    .max_flat_workgroup_size: 64
    .name:           _Z28segmented_warp_reduce_kernelIahLj16ELj100EENSt9enable_ifIXsr15benchmark_utilsE35device_test_enabled_for_warp_size_vIXT1_EEEvE4typeEPKT_PT0_PS3_
    .private_segment_fixed_size: 0
    .sgpr_count:     15
    .sgpr_spill_count: 0
    .symbol:         _Z28segmented_warp_reduce_kernelIahLj16ELj100EENSt9enable_ifIXsr15benchmark_utilsE35device_test_enabled_for_warp_size_vIXT1_EEEvE4typeEPKT_PT0_PS3_.kd
    .uniform_work_group_size: 1
    .uses_dynamic_stack: false
    .vgpr_count:     15
    .vgpr_spill_count: 0
    .wavefront_size: 64
  - .args:
      - .address_space:  global
        .offset:         0
        .size:           8
        .value_kind:     global_buffer
      - .address_space:  global
        .offset:         8
        .size:           8
        .value_kind:     global_buffer
      - .address_space:  global
        .offset:         16
        .size:           8
        .value_kind:     global_buffer
      - .offset:         24
        .size:           4
        .value_kind:     hidden_block_count_x
      - .offset:         28
        .size:           4
        .value_kind:     hidden_block_count_y
      - .offset:         32
        .size:           4
        .value_kind:     hidden_block_count_z
      - .offset:         36
        .size:           2
        .value_kind:     hidden_group_size_x
      - .offset:         38
        .size:           2
        .value_kind:     hidden_group_size_y
      - .offset:         40
        .size:           2
        .value_kind:     hidden_group_size_z
      - .offset:         42
        .size:           2
        .value_kind:     hidden_remainder_x
      - .offset:         44
        .size:           2
        .value_kind:     hidden_remainder_y
      - .offset:         46
        .size:           2
        .value_kind:     hidden_remainder_z
      - .offset:         64
        .size:           8
        .value_kind:     hidden_global_offset_x
      - .offset:         72
        .size:           8
        .value_kind:     hidden_global_offset_y
      - .offset:         80
        .size:           8
        .value_kind:     hidden_global_offset_z
      - .offset:         88
        .size:           2
        .value_kind:     hidden_grid_dims
    .group_segment_fixed_size: 31
    .kernarg_segment_align: 8
    .kernarg_segment_size: 280
    .language:       OpenCL C
    .language_version:
      - 2
      - 0
    .max_flat_workgroup_size: 64
    .name:           _Z28segmented_warp_reduce_kernelIahLj31ELj100EENSt9enable_ifIXsr15benchmark_utilsE35device_test_enabled_for_warp_size_vIXT1_EEEvE4typeEPKT_PT0_PS3_
    .private_segment_fixed_size: 0
    .sgpr_count:     16
    .sgpr_spill_count: 0
    .symbol:         _Z28segmented_warp_reduce_kernelIahLj31ELj100EENSt9enable_ifIXsr15benchmark_utilsE35device_test_enabled_for_warp_size_vIXT1_EEEvE4typeEPKT_PT0_PS3_.kd
    .uniform_work_group_size: 1
    .uses_dynamic_stack: false
    .vgpr_count:     13
    .vgpr_spill_count: 0
    .wavefront_size: 64
  - .args:
      - .address_space:  global
        .offset:         0
        .size:           8
        .value_kind:     global_buffer
      - .address_space:  global
        .offset:         8
        .size:           8
        .value_kind:     global_buffer
      - .address_space:  global
        .offset:         16
        .size:           8
        .value_kind:     global_buffer
      - .offset:         24
        .size:           4
        .value_kind:     hidden_block_count_x
      - .offset:         28
        .size:           4
        .value_kind:     hidden_block_count_y
      - .offset:         32
        .size:           4
        .value_kind:     hidden_block_count_z
      - .offset:         36
        .size:           2
        .value_kind:     hidden_group_size_x
      - .offset:         38
        .size:           2
        .value_kind:     hidden_group_size_y
      - .offset:         40
        .size:           2
        .value_kind:     hidden_group_size_z
      - .offset:         42
        .size:           2
        .value_kind:     hidden_remainder_x
      - .offset:         44
        .size:           2
        .value_kind:     hidden_remainder_y
      - .offset:         46
        .size:           2
        .value_kind:     hidden_remainder_z
      - .offset:         64
        .size:           8
        .value_kind:     hidden_global_offset_x
      - .offset:         72
        .size:           8
        .value_kind:     hidden_global_offset_y
      - .offset:         80
        .size:           8
        .value_kind:     hidden_global_offset_z
      - .offset:         88
        .size:           2
        .value_kind:     hidden_grid_dims
    .group_segment_fixed_size: 0
    .kernarg_segment_align: 8
    .kernarg_segment_size: 280
    .language:       OpenCL C
    .language_version:
      - 2
      - 0
    .max_flat_workgroup_size: 64
    .name:           _Z28segmented_warp_reduce_kernelIahLj32ELj100EENSt9enable_ifIXsr15benchmark_utilsE35device_test_enabled_for_warp_size_vIXT1_EEEvE4typeEPKT_PT0_PS3_
    .private_segment_fixed_size: 0
    .sgpr_count:     15
    .sgpr_spill_count: 0
    .symbol:         _Z28segmented_warp_reduce_kernelIahLj32ELj100EENSt9enable_ifIXsr15benchmark_utilsE35device_test_enabled_for_warp_size_vIXT1_EEEvE4typeEPKT_PT0_PS3_.kd
    .uniform_work_group_size: 1
    .uses_dynamic_stack: false
    .vgpr_count:     17
    .vgpr_spill_count: 0
    .wavefront_size: 64
  - .args:
      - .address_space:  global
        .offset:         0
        .size:           8
        .value_kind:     global_buffer
      - .address_space:  global
        .offset:         8
        .size:           8
        .value_kind:     global_buffer
      - .address_space:  global
        .offset:         16
        .size:           8
        .value_kind:     global_buffer
      - .offset:         24
        .size:           4
        .value_kind:     hidden_block_count_x
      - .offset:         28
        .size:           4
        .value_kind:     hidden_block_count_y
      - .offset:         32
        .size:           4
        .value_kind:     hidden_block_count_z
      - .offset:         36
        .size:           2
        .value_kind:     hidden_group_size_x
      - .offset:         38
        .size:           2
        .value_kind:     hidden_group_size_y
      - .offset:         40
        .size:           2
        .value_kind:     hidden_group_size_z
      - .offset:         42
        .size:           2
        .value_kind:     hidden_remainder_x
      - .offset:         44
        .size:           2
        .value_kind:     hidden_remainder_y
      - .offset:         46
        .size:           2
        .value_kind:     hidden_remainder_z
      - .offset:         64
        .size:           8
        .value_kind:     hidden_global_offset_x
      - .offset:         72
        .size:           8
        .value_kind:     hidden_global_offset_y
      - .offset:         80
        .size:           8
        .value_kind:     hidden_global_offset_z
      - .offset:         88
        .size:           2
        .value_kind:     hidden_grid_dims
    .group_segment_fixed_size: 37
    .kernarg_segment_align: 8
    .kernarg_segment_size: 280
    .language:       OpenCL C
    .language_version:
      - 2
      - 0
    .max_flat_workgroup_size: 64
    .name:           _Z28segmented_warp_reduce_kernelIahLj37ELj100EENSt9enable_ifIXsr15benchmark_utilsE35device_test_enabled_for_warp_size_vIXT1_EEEvE4typeEPKT_PT0_PS3_
    .private_segment_fixed_size: 0
    .sgpr_count:     16
    .sgpr_spill_count: 0
    .symbol:         _Z28segmented_warp_reduce_kernelIahLj37ELj100EENSt9enable_ifIXsr15benchmark_utilsE35device_test_enabled_for_warp_size_vIXT1_EEEvE4typeEPKT_PT0_PS3_.kd
    .uniform_work_group_size: 1
    .uses_dynamic_stack: false
    .vgpr_count:     14
    .vgpr_spill_count: 0
    .wavefront_size: 64
  - .args:
      - .address_space:  global
        .offset:         0
        .size:           8
        .value_kind:     global_buffer
      - .address_space:  global
        .offset:         8
        .size:           8
        .value_kind:     global_buffer
      - .address_space:  global
        .offset:         16
        .size:           8
        .value_kind:     global_buffer
      - .offset:         24
        .size:           4
        .value_kind:     hidden_block_count_x
      - .offset:         28
        .size:           4
        .value_kind:     hidden_block_count_y
      - .offset:         32
        .size:           4
        .value_kind:     hidden_block_count_z
      - .offset:         36
        .size:           2
        .value_kind:     hidden_group_size_x
      - .offset:         38
        .size:           2
        .value_kind:     hidden_group_size_y
      - .offset:         40
        .size:           2
        .value_kind:     hidden_group_size_z
      - .offset:         42
        .size:           2
        .value_kind:     hidden_remainder_x
      - .offset:         44
        .size:           2
        .value_kind:     hidden_remainder_y
      - .offset:         46
        .size:           2
        .value_kind:     hidden_remainder_z
      - .offset:         64
        .size:           8
        .value_kind:     hidden_global_offset_x
      - .offset:         72
        .size:           8
        .value_kind:     hidden_global_offset_y
      - .offset:         80
        .size:           8
        .value_kind:     hidden_global_offset_z
      - .offset:         88
        .size:           2
        .value_kind:     hidden_grid_dims
    .group_segment_fixed_size: 61
    .kernarg_segment_align: 8
    .kernarg_segment_size: 280
    .language:       OpenCL C
    .language_version:
      - 2
      - 0
    .max_flat_workgroup_size: 64
    .name:           _Z28segmented_warp_reduce_kernelIahLj61ELj100EENSt9enable_ifIXsr15benchmark_utilsE35device_test_enabled_for_warp_size_vIXT1_EEEvE4typeEPKT_PT0_PS3_
    .private_segment_fixed_size: 0
    .sgpr_count:     16
    .sgpr_spill_count: 0
    .symbol:         _Z28segmented_warp_reduce_kernelIahLj61ELj100EENSt9enable_ifIXsr15benchmark_utilsE35device_test_enabled_for_warp_size_vIXT1_EEEvE4typeEPKT_PT0_PS3_.kd
    .uniform_work_group_size: 1
    .uses_dynamic_stack: false
    .vgpr_count:     14
    .vgpr_spill_count: 0
    .wavefront_size: 64
  - .args:
      - .address_space:  global
        .offset:         0
        .size:           8
        .value_kind:     global_buffer
      - .address_space:  global
        .offset:         8
        .size:           8
        .value_kind:     global_buffer
      - .address_space:  global
        .offset:         16
        .size:           8
        .value_kind:     global_buffer
      - .offset:         24
        .size:           4
        .value_kind:     hidden_block_count_x
      - .offset:         28
        .size:           4
        .value_kind:     hidden_block_count_y
      - .offset:         32
        .size:           4
        .value_kind:     hidden_block_count_z
      - .offset:         36
        .size:           2
        .value_kind:     hidden_group_size_x
      - .offset:         38
        .size:           2
        .value_kind:     hidden_group_size_y
      - .offset:         40
        .size:           2
        .value_kind:     hidden_group_size_z
      - .offset:         42
        .size:           2
        .value_kind:     hidden_remainder_x
      - .offset:         44
        .size:           2
        .value_kind:     hidden_remainder_y
      - .offset:         46
        .size:           2
        .value_kind:     hidden_remainder_z
      - .offset:         64
        .size:           8
        .value_kind:     hidden_global_offset_x
      - .offset:         72
        .size:           8
        .value_kind:     hidden_global_offset_y
      - .offset:         80
        .size:           8
        .value_kind:     hidden_global_offset_z
      - .offset:         88
        .size:           2
        .value_kind:     hidden_grid_dims
    .group_segment_fixed_size: 0
    .kernarg_segment_align: 8
    .kernarg_segment_size: 280
    .language:       OpenCL C
    .language_version:
      - 2
      - 0
    .max_flat_workgroup_size: 64
    .name:           _Z28segmented_warp_reduce_kernelIahLj64ELj100EENSt9enable_ifIXsr15benchmark_utilsE35device_test_enabled_for_warp_size_vIXT1_EEEvE4typeEPKT_PT0_PS3_
    .private_segment_fixed_size: 0
    .sgpr_count:     19
    .sgpr_spill_count: 0
    .symbol:         _Z28segmented_warp_reduce_kernelIahLj64ELj100EENSt9enable_ifIXsr15benchmark_utilsE35device_test_enabled_for_warp_size_vIXT1_EEEvE4typeEPKT_PT0_PS3_.kd
    .uniform_work_group_size: 1
    .uses_dynamic_stack: false
    .vgpr_count:     19
    .vgpr_spill_count: 0
    .wavefront_size: 64
  - .args:
      - .address_space:  global
        .offset:         0
        .size:           8
        .value_kind:     global_buffer
      - .address_space:  global
        .offset:         8
        .size:           8
        .value_kind:     global_buffer
      - .address_space:  global
        .offset:         16
        .size:           8
        .value_kind:     global_buffer
      - .offset:         24
        .size:           4
        .value_kind:     hidden_block_count_x
      - .offset:         28
        .size:           4
        .value_kind:     hidden_block_count_y
      - .offset:         32
        .size:           4
        .value_kind:     hidden_block_count_z
      - .offset:         36
        .size:           2
        .value_kind:     hidden_group_size_x
      - .offset:         38
        .size:           2
        .value_kind:     hidden_group_size_y
      - .offset:         40
        .size:           2
        .value_kind:     hidden_group_size_z
      - .offset:         42
        .size:           2
        .value_kind:     hidden_remainder_x
      - .offset:         44
        .size:           2
        .value_kind:     hidden_remainder_y
      - .offset:         46
        .size:           2
        .value_kind:     hidden_remainder_z
      - .offset:         64
        .size:           8
        .value_kind:     hidden_global_offset_x
      - .offset:         72
        .size:           8
        .value_kind:     hidden_global_offset_y
      - .offset:         80
        .size:           8
        .value_kind:     hidden_global_offset_z
      - .offset:         88
        .size:           2
        .value_kind:     hidden_grid_dims
    .group_segment_fixed_size: 15
    .kernarg_segment_align: 8
    .kernarg_segment_size: 280
    .language:       OpenCL C
    .language_version:
      - 2
      - 0
    .max_flat_workgroup_size: 64
    .name:           _Z28segmented_warp_reduce_kernelIhhLj15ELj100EENSt9enable_ifIXsr15benchmark_utilsE35device_test_enabled_for_warp_size_vIXT1_EEEvE4typeEPKT_PT0_PS3_
    .private_segment_fixed_size: 0
    .sgpr_count:     16
    .sgpr_spill_count: 0
    .symbol:         _Z28segmented_warp_reduce_kernelIhhLj15ELj100EENSt9enable_ifIXsr15benchmark_utilsE35device_test_enabled_for_warp_size_vIXT1_EEEvE4typeEPKT_PT0_PS3_.kd
    .uniform_work_group_size: 1
    .uses_dynamic_stack: false
    .vgpr_count:     12
    .vgpr_spill_count: 0
    .wavefront_size: 64
  - .args:
      - .address_space:  global
        .offset:         0
        .size:           8
        .value_kind:     global_buffer
      - .address_space:  global
        .offset:         8
        .size:           8
        .value_kind:     global_buffer
      - .address_space:  global
        .offset:         16
        .size:           8
        .value_kind:     global_buffer
      - .offset:         24
        .size:           4
        .value_kind:     hidden_block_count_x
      - .offset:         28
        .size:           4
        .value_kind:     hidden_block_count_y
      - .offset:         32
        .size:           4
        .value_kind:     hidden_block_count_z
      - .offset:         36
        .size:           2
        .value_kind:     hidden_group_size_x
      - .offset:         38
        .size:           2
        .value_kind:     hidden_group_size_y
      - .offset:         40
        .size:           2
        .value_kind:     hidden_group_size_z
      - .offset:         42
        .size:           2
        .value_kind:     hidden_remainder_x
      - .offset:         44
        .size:           2
        .value_kind:     hidden_remainder_y
      - .offset:         46
        .size:           2
        .value_kind:     hidden_remainder_z
      - .offset:         64
        .size:           8
        .value_kind:     hidden_global_offset_x
      - .offset:         72
        .size:           8
        .value_kind:     hidden_global_offset_y
      - .offset:         80
        .size:           8
        .value_kind:     hidden_global_offset_z
      - .offset:         88
        .size:           2
        .value_kind:     hidden_grid_dims
    .group_segment_fixed_size: 0
    .kernarg_segment_align: 8
    .kernarg_segment_size: 280
    .language:       OpenCL C
    .language_version:
      - 2
      - 0
    .max_flat_workgroup_size: 64
    .name:           _Z28segmented_warp_reduce_kernelIhhLj16ELj100EENSt9enable_ifIXsr15benchmark_utilsE35device_test_enabled_for_warp_size_vIXT1_EEEvE4typeEPKT_PT0_PS3_
    .private_segment_fixed_size: 0
    .sgpr_count:     15
    .sgpr_spill_count: 0
    .symbol:         _Z28segmented_warp_reduce_kernelIhhLj16ELj100EENSt9enable_ifIXsr15benchmark_utilsE35device_test_enabled_for_warp_size_vIXT1_EEEvE4typeEPKT_PT0_PS3_.kd
    .uniform_work_group_size: 1
    .uses_dynamic_stack: false
    .vgpr_count:     15
    .vgpr_spill_count: 0
    .wavefront_size: 64
  - .args:
      - .address_space:  global
        .offset:         0
        .size:           8
        .value_kind:     global_buffer
      - .address_space:  global
        .offset:         8
        .size:           8
        .value_kind:     global_buffer
      - .address_space:  global
        .offset:         16
        .size:           8
        .value_kind:     global_buffer
      - .offset:         24
        .size:           4
        .value_kind:     hidden_block_count_x
      - .offset:         28
        .size:           4
        .value_kind:     hidden_block_count_y
      - .offset:         32
        .size:           4
        .value_kind:     hidden_block_count_z
      - .offset:         36
        .size:           2
        .value_kind:     hidden_group_size_x
      - .offset:         38
        .size:           2
        .value_kind:     hidden_group_size_y
      - .offset:         40
        .size:           2
        .value_kind:     hidden_group_size_z
      - .offset:         42
        .size:           2
        .value_kind:     hidden_remainder_x
      - .offset:         44
        .size:           2
        .value_kind:     hidden_remainder_y
      - .offset:         46
        .size:           2
        .value_kind:     hidden_remainder_z
      - .offset:         64
        .size:           8
        .value_kind:     hidden_global_offset_x
      - .offset:         72
        .size:           8
        .value_kind:     hidden_global_offset_y
      - .offset:         80
        .size:           8
        .value_kind:     hidden_global_offset_z
      - .offset:         88
        .size:           2
        .value_kind:     hidden_grid_dims
    .group_segment_fixed_size: 31
    .kernarg_segment_align: 8
    .kernarg_segment_size: 280
    .language:       OpenCL C
    .language_version:
      - 2
      - 0
    .max_flat_workgroup_size: 64
    .name:           _Z28segmented_warp_reduce_kernelIhhLj31ELj100EENSt9enable_ifIXsr15benchmark_utilsE35device_test_enabled_for_warp_size_vIXT1_EEEvE4typeEPKT_PT0_PS3_
    .private_segment_fixed_size: 0
    .sgpr_count:     16
    .sgpr_spill_count: 0
    .symbol:         _Z28segmented_warp_reduce_kernelIhhLj31ELj100EENSt9enable_ifIXsr15benchmark_utilsE35device_test_enabled_for_warp_size_vIXT1_EEEvE4typeEPKT_PT0_PS3_.kd
    .uniform_work_group_size: 1
    .uses_dynamic_stack: false
    .vgpr_count:     13
    .vgpr_spill_count: 0
    .wavefront_size: 64
  - .args:
      - .address_space:  global
        .offset:         0
        .size:           8
        .value_kind:     global_buffer
      - .address_space:  global
        .offset:         8
        .size:           8
        .value_kind:     global_buffer
      - .address_space:  global
        .offset:         16
        .size:           8
        .value_kind:     global_buffer
      - .offset:         24
        .size:           4
        .value_kind:     hidden_block_count_x
      - .offset:         28
        .size:           4
        .value_kind:     hidden_block_count_y
      - .offset:         32
        .size:           4
        .value_kind:     hidden_block_count_z
      - .offset:         36
        .size:           2
        .value_kind:     hidden_group_size_x
      - .offset:         38
        .size:           2
        .value_kind:     hidden_group_size_y
      - .offset:         40
        .size:           2
        .value_kind:     hidden_group_size_z
      - .offset:         42
        .size:           2
        .value_kind:     hidden_remainder_x
      - .offset:         44
        .size:           2
        .value_kind:     hidden_remainder_y
      - .offset:         46
        .size:           2
        .value_kind:     hidden_remainder_z
      - .offset:         64
        .size:           8
        .value_kind:     hidden_global_offset_x
      - .offset:         72
        .size:           8
        .value_kind:     hidden_global_offset_y
      - .offset:         80
        .size:           8
        .value_kind:     hidden_global_offset_z
      - .offset:         88
        .size:           2
        .value_kind:     hidden_grid_dims
    .group_segment_fixed_size: 0
    .kernarg_segment_align: 8
    .kernarg_segment_size: 280
    .language:       OpenCL C
    .language_version:
      - 2
      - 0
    .max_flat_workgroup_size: 64
    .name:           _Z28segmented_warp_reduce_kernelIhhLj32ELj100EENSt9enable_ifIXsr15benchmark_utilsE35device_test_enabled_for_warp_size_vIXT1_EEEvE4typeEPKT_PT0_PS3_
    .private_segment_fixed_size: 0
    .sgpr_count:     15
    .sgpr_spill_count: 0
    .symbol:         _Z28segmented_warp_reduce_kernelIhhLj32ELj100EENSt9enable_ifIXsr15benchmark_utilsE35device_test_enabled_for_warp_size_vIXT1_EEEvE4typeEPKT_PT0_PS3_.kd
    .uniform_work_group_size: 1
    .uses_dynamic_stack: false
    .vgpr_count:     17
    .vgpr_spill_count: 0
    .wavefront_size: 64
  - .args:
      - .address_space:  global
        .offset:         0
        .size:           8
        .value_kind:     global_buffer
      - .address_space:  global
        .offset:         8
        .size:           8
        .value_kind:     global_buffer
      - .address_space:  global
        .offset:         16
        .size:           8
        .value_kind:     global_buffer
      - .offset:         24
        .size:           4
        .value_kind:     hidden_block_count_x
      - .offset:         28
        .size:           4
        .value_kind:     hidden_block_count_y
      - .offset:         32
        .size:           4
        .value_kind:     hidden_block_count_z
      - .offset:         36
        .size:           2
        .value_kind:     hidden_group_size_x
      - .offset:         38
        .size:           2
        .value_kind:     hidden_group_size_y
      - .offset:         40
        .size:           2
        .value_kind:     hidden_group_size_z
      - .offset:         42
        .size:           2
        .value_kind:     hidden_remainder_x
      - .offset:         44
        .size:           2
        .value_kind:     hidden_remainder_y
      - .offset:         46
        .size:           2
        .value_kind:     hidden_remainder_z
      - .offset:         64
        .size:           8
        .value_kind:     hidden_global_offset_x
      - .offset:         72
        .size:           8
        .value_kind:     hidden_global_offset_y
      - .offset:         80
        .size:           8
        .value_kind:     hidden_global_offset_z
      - .offset:         88
        .size:           2
        .value_kind:     hidden_grid_dims
    .group_segment_fixed_size: 37
    .kernarg_segment_align: 8
    .kernarg_segment_size: 280
    .language:       OpenCL C
    .language_version:
      - 2
      - 0
    .max_flat_workgroup_size: 64
    .name:           _Z28segmented_warp_reduce_kernelIhhLj37ELj100EENSt9enable_ifIXsr15benchmark_utilsE35device_test_enabled_for_warp_size_vIXT1_EEEvE4typeEPKT_PT0_PS3_
    .private_segment_fixed_size: 0
    .sgpr_count:     16
    .sgpr_spill_count: 0
    .symbol:         _Z28segmented_warp_reduce_kernelIhhLj37ELj100EENSt9enable_ifIXsr15benchmark_utilsE35device_test_enabled_for_warp_size_vIXT1_EEEvE4typeEPKT_PT0_PS3_.kd
    .uniform_work_group_size: 1
    .uses_dynamic_stack: false
    .vgpr_count:     14
    .vgpr_spill_count: 0
    .wavefront_size: 64
  - .args:
      - .address_space:  global
        .offset:         0
        .size:           8
        .value_kind:     global_buffer
      - .address_space:  global
        .offset:         8
        .size:           8
        .value_kind:     global_buffer
      - .address_space:  global
        .offset:         16
        .size:           8
        .value_kind:     global_buffer
      - .offset:         24
        .size:           4
        .value_kind:     hidden_block_count_x
      - .offset:         28
        .size:           4
        .value_kind:     hidden_block_count_y
      - .offset:         32
        .size:           4
        .value_kind:     hidden_block_count_z
      - .offset:         36
        .size:           2
        .value_kind:     hidden_group_size_x
      - .offset:         38
        .size:           2
        .value_kind:     hidden_group_size_y
      - .offset:         40
        .size:           2
        .value_kind:     hidden_group_size_z
      - .offset:         42
        .size:           2
        .value_kind:     hidden_remainder_x
      - .offset:         44
        .size:           2
        .value_kind:     hidden_remainder_y
      - .offset:         46
        .size:           2
        .value_kind:     hidden_remainder_z
      - .offset:         64
        .size:           8
        .value_kind:     hidden_global_offset_x
      - .offset:         72
        .size:           8
        .value_kind:     hidden_global_offset_y
      - .offset:         80
        .size:           8
        .value_kind:     hidden_global_offset_z
      - .offset:         88
        .size:           2
        .value_kind:     hidden_grid_dims
    .group_segment_fixed_size: 61
    .kernarg_segment_align: 8
    .kernarg_segment_size: 280
    .language:       OpenCL C
    .language_version:
      - 2
      - 0
    .max_flat_workgroup_size: 64
    .name:           _Z28segmented_warp_reduce_kernelIhhLj61ELj100EENSt9enable_ifIXsr15benchmark_utilsE35device_test_enabled_for_warp_size_vIXT1_EEEvE4typeEPKT_PT0_PS3_
    .private_segment_fixed_size: 0
    .sgpr_count:     16
    .sgpr_spill_count: 0
    .symbol:         _Z28segmented_warp_reduce_kernelIhhLj61ELj100EENSt9enable_ifIXsr15benchmark_utilsE35device_test_enabled_for_warp_size_vIXT1_EEEvE4typeEPKT_PT0_PS3_.kd
    .uniform_work_group_size: 1
    .uses_dynamic_stack: false
    .vgpr_count:     14
    .vgpr_spill_count: 0
    .wavefront_size: 64
  - .args:
      - .address_space:  global
        .offset:         0
        .size:           8
        .value_kind:     global_buffer
      - .address_space:  global
        .offset:         8
        .size:           8
        .value_kind:     global_buffer
      - .address_space:  global
        .offset:         16
        .size:           8
        .value_kind:     global_buffer
      - .offset:         24
        .size:           4
        .value_kind:     hidden_block_count_x
      - .offset:         28
        .size:           4
        .value_kind:     hidden_block_count_y
      - .offset:         32
        .size:           4
        .value_kind:     hidden_block_count_z
      - .offset:         36
        .size:           2
        .value_kind:     hidden_group_size_x
      - .offset:         38
        .size:           2
        .value_kind:     hidden_group_size_y
      - .offset:         40
        .size:           2
        .value_kind:     hidden_group_size_z
      - .offset:         42
        .size:           2
        .value_kind:     hidden_remainder_x
      - .offset:         44
        .size:           2
        .value_kind:     hidden_remainder_y
      - .offset:         46
        .size:           2
        .value_kind:     hidden_remainder_z
      - .offset:         64
        .size:           8
        .value_kind:     hidden_global_offset_x
      - .offset:         72
        .size:           8
        .value_kind:     hidden_global_offset_y
      - .offset:         80
        .size:           8
        .value_kind:     hidden_global_offset_z
      - .offset:         88
        .size:           2
        .value_kind:     hidden_grid_dims
    .group_segment_fixed_size: 0
    .kernarg_segment_align: 8
    .kernarg_segment_size: 280
    .language:       OpenCL C
    .language_version:
      - 2
      - 0
    .max_flat_workgroup_size: 64
    .name:           _Z28segmented_warp_reduce_kernelIhhLj64ELj100EENSt9enable_ifIXsr15benchmark_utilsE35device_test_enabled_for_warp_size_vIXT1_EEEvE4typeEPKT_PT0_PS3_
    .private_segment_fixed_size: 0
    .sgpr_count:     19
    .sgpr_spill_count: 0
    .symbol:         _Z28segmented_warp_reduce_kernelIhhLj64ELj100EENSt9enable_ifIXsr15benchmark_utilsE35device_test_enabled_for_warp_size_vIXT1_EEEvE4typeEPKT_PT0_PS3_.kd
    .uniform_work_group_size: 1
    .uses_dynamic_stack: false
    .vgpr_count:     19
    .vgpr_spill_count: 0
    .wavefront_size: 64
amdhsa.target:   amdgcn-amd-amdhsa--gfx906
amdhsa.version:
  - 1
  - 2
...

	.end_amdgpu_metadata
